;; amdgpu-corpus repo=ROCm/rocFFT kind=compiled arch=gfx1201 opt=O3
	.text
	.amdgcn_target "amdgcn-amd-amdhsa--gfx1201"
	.amdhsa_code_object_version 6
	.protected	fft_rtc_back_len338_factors_13_2_13_wgs_52_tpt_26_halfLds_sp_ip_CI_unitstride_sbrr_dirReg ; -- Begin function fft_rtc_back_len338_factors_13_2_13_wgs_52_tpt_26_halfLds_sp_ip_CI_unitstride_sbrr_dirReg
	.globl	fft_rtc_back_len338_factors_13_2_13_wgs_52_tpt_26_halfLds_sp_ip_CI_unitstride_sbrr_dirReg
	.p2align	8
	.type	fft_rtc_back_len338_factors_13_2_13_wgs_52_tpt_26_halfLds_sp_ip_CI_unitstride_sbrr_dirReg,@function
fft_rtc_back_len338_factors_13_2_13_wgs_52_tpt_26_halfLds_sp_ip_CI_unitstride_sbrr_dirReg: ; @fft_rtc_back_len338_factors_13_2_13_wgs_52_tpt_26_halfLds_sp_ip_CI_unitstride_sbrr_dirReg
; %bb.0:
	s_clause 0x2
	s_load_b128 s[4:7], s[0:1], 0x0
	s_load_b64 s[8:9], s[0:1], 0x50
	s_load_b64 s[10:11], s[0:1], 0x18
	v_mul_u32_u24_e32 v1, 0x9d9, v0
	v_mov_b32_e32 v3, 0
	s_delay_alu instid0(VALU_DEP_2) | instskip(SKIP_2) | instid1(VALU_DEP_4)
	v_lshrrev_b32_e32 v17, 16, v1
	v_mov_b32_e32 v1, 0
	v_mov_b32_e32 v2, 0
	;; [unrolled: 1-line block ×3, first 2 shown]
	s_delay_alu instid0(VALU_DEP_4) | instskip(SKIP_2) | instid1(VALU_DEP_1)
	v_lshl_add_u32 v5, ttmp9, 1, v17
	s_wait_kmcnt 0x0
	v_cmp_lt_u64_e64 s2, s[6:7], 2
	s_and_b32 vcc_lo, exec_lo, s2
	s_cbranch_vccnz .LBB0_8
; %bb.1:
	s_load_b64 s[2:3], s[0:1], 0x10
	v_mov_b32_e32 v1, 0
	v_mov_b32_e32 v2, 0
	s_add_nc_u64 s[12:13], s[10:11], 8
	s_mov_b64 s[14:15], 1
	s_wait_kmcnt 0x0
	s_add_nc_u64 s[16:17], s[2:3], 8
	s_mov_b32 s3, 0
.LBB0_2:                                ; =>This Inner Loop Header: Depth=1
	s_load_b64 s[18:19], s[16:17], 0x0
                                        ; implicit-def: $vgpr7_vgpr8
	s_mov_b32 s2, exec_lo
	s_wait_kmcnt 0x0
	v_or_b32_e32 v4, s19, v6
	s_delay_alu instid0(VALU_DEP_1)
	v_cmpx_ne_u64_e32 0, v[3:4]
	s_wait_alu 0xfffe
	s_xor_b32 s20, exec_lo, s2
	s_cbranch_execz .LBB0_4
; %bb.3:                                ;   in Loop: Header=BB0_2 Depth=1
	s_cvt_f32_u32 s2, s18
	s_cvt_f32_u32 s21, s19
	s_sub_nc_u64 s[24:25], 0, s[18:19]
	s_wait_alu 0xfffe
	s_delay_alu instid0(SALU_CYCLE_1) | instskip(SKIP_1) | instid1(SALU_CYCLE_2)
	s_fmamk_f32 s2, s21, 0x4f800000, s2
	s_wait_alu 0xfffe
	v_s_rcp_f32 s2, s2
	s_delay_alu instid0(TRANS32_DEP_1) | instskip(SKIP_1) | instid1(SALU_CYCLE_2)
	s_mul_f32 s2, s2, 0x5f7ffffc
	s_wait_alu 0xfffe
	s_mul_f32 s21, s2, 0x2f800000
	s_wait_alu 0xfffe
	s_delay_alu instid0(SALU_CYCLE_2) | instskip(SKIP_1) | instid1(SALU_CYCLE_2)
	s_trunc_f32 s21, s21
	s_wait_alu 0xfffe
	s_fmamk_f32 s2, s21, 0xcf800000, s2
	s_cvt_u32_f32 s23, s21
	s_wait_alu 0xfffe
	s_delay_alu instid0(SALU_CYCLE_1) | instskip(SKIP_1) | instid1(SALU_CYCLE_2)
	s_cvt_u32_f32 s22, s2
	s_wait_alu 0xfffe
	s_mul_u64 s[26:27], s[24:25], s[22:23]
	s_wait_alu 0xfffe
	s_mul_hi_u32 s29, s22, s27
	s_mul_i32 s28, s22, s27
	s_mul_hi_u32 s2, s22, s26
	s_mul_i32 s30, s23, s26
	s_wait_alu 0xfffe
	s_add_nc_u64 s[28:29], s[2:3], s[28:29]
	s_mul_hi_u32 s21, s23, s26
	s_mul_hi_u32 s31, s23, s27
	s_add_co_u32 s2, s28, s30
	s_wait_alu 0xfffe
	s_add_co_ci_u32 s2, s29, s21
	s_mul_i32 s26, s23, s27
	s_add_co_ci_u32 s27, s31, 0
	s_wait_alu 0xfffe
	s_add_nc_u64 s[26:27], s[2:3], s[26:27]
	s_wait_alu 0xfffe
	v_add_co_u32 v4, s2, s22, s26
	s_delay_alu instid0(VALU_DEP_1) | instskip(SKIP_1) | instid1(VALU_DEP_1)
	s_cmp_lg_u32 s2, 0
	s_add_co_ci_u32 s23, s23, s27
	v_readfirstlane_b32 s22, v4
	s_wait_alu 0xfffe
	s_delay_alu instid0(VALU_DEP_1)
	s_mul_u64 s[24:25], s[24:25], s[22:23]
	s_wait_alu 0xfffe
	s_mul_hi_u32 s27, s22, s25
	s_mul_i32 s26, s22, s25
	s_mul_hi_u32 s2, s22, s24
	s_mul_i32 s28, s23, s24
	s_wait_alu 0xfffe
	s_add_nc_u64 s[26:27], s[2:3], s[26:27]
	s_mul_hi_u32 s21, s23, s24
	s_mul_hi_u32 s22, s23, s25
	s_wait_alu 0xfffe
	s_add_co_u32 s2, s26, s28
	s_add_co_ci_u32 s2, s27, s21
	s_mul_i32 s24, s23, s25
	s_add_co_ci_u32 s25, s22, 0
	s_wait_alu 0xfffe
	s_add_nc_u64 s[24:25], s[2:3], s[24:25]
	s_wait_alu 0xfffe
	v_add_co_u32 v4, s2, v4, s24
	s_delay_alu instid0(VALU_DEP_1) | instskip(SKIP_1) | instid1(VALU_DEP_1)
	s_cmp_lg_u32 s2, 0
	s_add_co_ci_u32 s2, s23, s25
	v_mul_hi_u32 v13, v5, v4
	s_wait_alu 0xfffe
	v_mad_co_u64_u32 v[7:8], null, v5, s2, 0
	v_mad_co_u64_u32 v[9:10], null, v6, v4, 0
	;; [unrolled: 1-line block ×3, first 2 shown]
	s_delay_alu instid0(VALU_DEP_3) | instskip(SKIP_1) | instid1(VALU_DEP_4)
	v_add_co_u32 v4, vcc_lo, v13, v7
	s_wait_alu 0xfffd
	v_add_co_ci_u32_e32 v7, vcc_lo, 0, v8, vcc_lo
	s_delay_alu instid0(VALU_DEP_2) | instskip(SKIP_1) | instid1(VALU_DEP_2)
	v_add_co_u32 v4, vcc_lo, v4, v9
	s_wait_alu 0xfffd
	v_add_co_ci_u32_e32 v4, vcc_lo, v7, v10, vcc_lo
	s_wait_alu 0xfffd
	v_add_co_ci_u32_e32 v7, vcc_lo, 0, v12, vcc_lo
	s_delay_alu instid0(VALU_DEP_2) | instskip(SKIP_1) | instid1(VALU_DEP_2)
	v_add_co_u32 v4, vcc_lo, v4, v11
	s_wait_alu 0xfffd
	v_add_co_ci_u32_e32 v9, vcc_lo, 0, v7, vcc_lo
	s_delay_alu instid0(VALU_DEP_2) | instskip(SKIP_1) | instid1(VALU_DEP_3)
	v_mul_lo_u32 v10, s19, v4
	v_mad_co_u64_u32 v[7:8], null, s18, v4, 0
	v_mul_lo_u32 v11, s18, v9
	s_delay_alu instid0(VALU_DEP_2) | instskip(NEXT) | instid1(VALU_DEP_2)
	v_sub_co_u32 v7, vcc_lo, v5, v7
	v_add3_u32 v8, v8, v11, v10
	s_delay_alu instid0(VALU_DEP_1) | instskip(SKIP_1) | instid1(VALU_DEP_1)
	v_sub_nc_u32_e32 v10, v6, v8
	s_wait_alu 0xfffd
	v_subrev_co_ci_u32_e64 v10, s2, s19, v10, vcc_lo
	v_add_co_u32 v11, s2, v4, 2
	s_wait_alu 0xf1ff
	v_add_co_ci_u32_e64 v12, s2, 0, v9, s2
	v_sub_co_u32 v13, s2, v7, s18
	v_sub_co_ci_u32_e32 v8, vcc_lo, v6, v8, vcc_lo
	s_wait_alu 0xf1ff
	v_subrev_co_ci_u32_e64 v10, s2, 0, v10, s2
	s_delay_alu instid0(VALU_DEP_3) | instskip(NEXT) | instid1(VALU_DEP_3)
	v_cmp_le_u32_e32 vcc_lo, s18, v13
	v_cmp_eq_u32_e64 s2, s19, v8
	s_wait_alu 0xfffd
	v_cndmask_b32_e64 v13, 0, -1, vcc_lo
	v_cmp_le_u32_e32 vcc_lo, s19, v10
	s_wait_alu 0xfffd
	v_cndmask_b32_e64 v14, 0, -1, vcc_lo
	v_cmp_le_u32_e32 vcc_lo, s18, v7
	;; [unrolled: 3-line block ×3, first 2 shown]
	s_wait_alu 0xfffd
	v_cndmask_b32_e64 v15, 0, -1, vcc_lo
	v_cmp_eq_u32_e32 vcc_lo, s19, v10
	s_wait_alu 0xf1ff
	s_delay_alu instid0(VALU_DEP_2)
	v_cndmask_b32_e64 v7, v15, v7, s2
	s_wait_alu 0xfffd
	v_cndmask_b32_e32 v10, v14, v13, vcc_lo
	v_add_co_u32 v13, vcc_lo, v4, 1
	s_wait_alu 0xfffd
	v_add_co_ci_u32_e32 v14, vcc_lo, 0, v9, vcc_lo
	s_delay_alu instid0(VALU_DEP_3) | instskip(SKIP_2) | instid1(VALU_DEP_3)
	v_cmp_ne_u32_e32 vcc_lo, 0, v10
	s_wait_alu 0xfffd
	v_cndmask_b32_e32 v10, v13, v11, vcc_lo
	v_cndmask_b32_e32 v8, v14, v12, vcc_lo
	v_cmp_ne_u32_e32 vcc_lo, 0, v7
	s_wait_alu 0xfffd
	s_delay_alu instid0(VALU_DEP_2)
	v_dual_cndmask_b32 v7, v4, v10 :: v_dual_cndmask_b32 v8, v9, v8
.LBB0_4:                                ;   in Loop: Header=BB0_2 Depth=1
	s_wait_alu 0xfffe
	s_and_not1_saveexec_b32 s2, s20
	s_cbranch_execz .LBB0_6
; %bb.5:                                ;   in Loop: Header=BB0_2 Depth=1
	v_cvt_f32_u32_e32 v4, s18
	s_sub_co_i32 s20, 0, s18
	s_delay_alu instid0(VALU_DEP_1) | instskip(NEXT) | instid1(TRANS32_DEP_1)
	v_rcp_iflag_f32_e32 v4, v4
	v_mul_f32_e32 v4, 0x4f7ffffe, v4
	s_delay_alu instid0(VALU_DEP_1) | instskip(SKIP_1) | instid1(VALU_DEP_1)
	v_cvt_u32_f32_e32 v4, v4
	s_wait_alu 0xfffe
	v_mul_lo_u32 v7, s20, v4
	s_delay_alu instid0(VALU_DEP_1) | instskip(NEXT) | instid1(VALU_DEP_1)
	v_mul_hi_u32 v7, v4, v7
	v_add_nc_u32_e32 v4, v4, v7
	s_delay_alu instid0(VALU_DEP_1) | instskip(NEXT) | instid1(VALU_DEP_1)
	v_mul_hi_u32 v4, v5, v4
	v_mul_lo_u32 v7, v4, s18
	v_add_nc_u32_e32 v8, 1, v4
	s_delay_alu instid0(VALU_DEP_2) | instskip(NEXT) | instid1(VALU_DEP_1)
	v_sub_nc_u32_e32 v7, v5, v7
	v_subrev_nc_u32_e32 v9, s18, v7
	v_cmp_le_u32_e32 vcc_lo, s18, v7
	s_wait_alu 0xfffd
	s_delay_alu instid0(VALU_DEP_2) | instskip(NEXT) | instid1(VALU_DEP_1)
	v_dual_cndmask_b32 v7, v7, v9 :: v_dual_cndmask_b32 v4, v4, v8
	v_cmp_le_u32_e32 vcc_lo, s18, v7
	s_delay_alu instid0(VALU_DEP_2) | instskip(SKIP_1) | instid1(VALU_DEP_1)
	v_add_nc_u32_e32 v8, 1, v4
	s_wait_alu 0xfffd
	v_dual_cndmask_b32 v7, v4, v8 :: v_dual_mov_b32 v8, v3
.LBB0_6:                                ;   in Loop: Header=BB0_2 Depth=1
	s_wait_alu 0xfffe
	s_or_b32 exec_lo, exec_lo, s2
	s_load_b64 s[20:21], s[12:13], 0x0
	s_delay_alu instid0(VALU_DEP_1)
	v_mul_lo_u32 v4, v8, s18
	v_mul_lo_u32 v11, v7, s19
	v_mad_co_u64_u32 v[9:10], null, v7, s18, 0
	s_add_nc_u64 s[14:15], s[14:15], 1
	s_add_nc_u64 s[12:13], s[12:13], 8
	s_wait_alu 0xfffe
	v_cmp_ge_u64_e64 s2, s[14:15], s[6:7]
	s_add_nc_u64 s[16:17], s[16:17], 8
	s_delay_alu instid0(VALU_DEP_2) | instskip(NEXT) | instid1(VALU_DEP_3)
	v_add3_u32 v4, v10, v11, v4
	v_sub_co_u32 v5, vcc_lo, v5, v9
	s_wait_alu 0xfffd
	s_delay_alu instid0(VALU_DEP_2) | instskip(SKIP_3) | instid1(VALU_DEP_2)
	v_sub_co_ci_u32_e32 v4, vcc_lo, v6, v4, vcc_lo
	s_and_b32 vcc_lo, exec_lo, s2
	s_wait_kmcnt 0x0
	v_mul_lo_u32 v6, s21, v5
	v_mul_lo_u32 v4, s20, v4
	v_mad_co_u64_u32 v[1:2], null, s20, v5, v[1:2]
	s_delay_alu instid0(VALU_DEP_1)
	v_add3_u32 v2, v6, v2, v4
	s_wait_alu 0xfffe
	s_cbranch_vccnz .LBB0_9
; %bb.7:                                ;   in Loop: Header=BB0_2 Depth=1
	v_dual_mov_b32 v5, v7 :: v_dual_mov_b32 v6, v8
	s_branch .LBB0_2
.LBB0_8:
	v_dual_mov_b32 v8, v6 :: v_dual_mov_b32 v7, v5
.LBB0_9:
	s_lshl_b64 s[2:3], s[6:7], 3
	v_mul_hi_u32 v3, 0x9d89d8a, v0
	s_wait_alu 0xfffe
	s_add_nc_u64 s[2:3], s[10:11], s[2:3]
                                        ; implicit-def: $vgpr42
                                        ; implicit-def: $vgpr40
                                        ; implicit-def: $vgpr30
                                        ; implicit-def: $vgpr16
                                        ; implicit-def: $vgpr12
                                        ; implicit-def: $vgpr14
                                        ; implicit-def: $vgpr34
                                        ; implicit-def: $vgpr36
                                        ; implicit-def: $vgpr38
                                        ; implicit-def: $vgpr24
                                        ; implicit-def: $vgpr10
	s_load_b64 s[2:3], s[2:3], 0x0
	s_load_b64 s[0:1], s[0:1], 0x20
	s_wait_kmcnt 0x0
	v_mul_lo_u32 v4, s2, v8
	v_mul_lo_u32 v9, s3, v7
	v_mad_co_u64_u32 v[5:6], null, s2, v7, v[1:2]
	v_mul_u32_u24_e32 v1, 26, v3
	v_mov_b32_e32 v2, 0
	v_mov_b32_e32 v3, 0
	v_cmp_gt_u64_e32 vcc_lo, s[0:1], v[7:8]
                                        ; implicit-def: $vgpr8
	v_add3_u32 v6, v9, v6, v4
	v_sub_nc_u32_e32 v4, v0, v1
	s_delay_alu instid0(VALU_DEP_4) | instskip(NEXT) | instid1(VALU_DEP_3)
	v_dual_mov_b32 v32, v3 :: v_dual_mov_b32 v31, v2
	v_lshlrev_b64_e32 v[0:1], 3, v[5:6]
	s_and_saveexec_b32 s1, vcc_lo
; %bb.10:
	v_mov_b32_e32 v5, 0
	s_delay_alu instid0(VALU_DEP_2) | instskip(SKIP_1) | instid1(VALU_DEP_3)
	v_add_co_u32 v6, s0, s8, v0
	s_wait_alu 0xf1ff
	v_add_co_ci_u32_e64 v7, s0, s9, v1, s0
	s_delay_alu instid0(VALU_DEP_3) | instskip(NEXT) | instid1(VALU_DEP_1)
	v_lshlrev_b64_e32 v[2:3], 3, v[4:5]
	v_add_co_u32 v2, s0, v6, v2
	s_wait_alu 0xf1ff
	s_delay_alu instid0(VALU_DEP_2)
	v_add_co_ci_u32_e64 v3, s0, v7, v3, s0
	s_clause 0xc
	global_load_b64 v[31:32], v[2:3], off
	global_load_b64 v[41:42], v[2:3], off offset:208
	global_load_b64 v[39:40], v[2:3], off offset:416
	;; [unrolled: 1-line block ×12, first 2 shown]
	v_dual_mov_b32 v2, v4 :: v_dual_mov_b32 v3, v5
; %bb.11:
	s_wait_alu 0xfffe
	s_or_b32 exec_lo, exec_lo, s1
	s_wait_loadcnt 0xb
	v_dual_add_f32 v5, v41, v31 :: v_dual_and_b32 v6, 1, v17
	s_wait_loadcnt 0x0
	v_dual_add_f32 v17, v41, v35 :: v_dual_sub_f32 v18, v42, v36
	v_dual_add_f32 v19, v39, v37 :: v_dual_sub_f32 v20, v40, v38
	s_delay_alu instid0(VALU_DEP_3) | instskip(SKIP_1) | instid1(VALU_DEP_4)
	v_add_f32_e32 v5, v39, v5
	v_cmp_eq_u32_e64 s0, 1, v6
	v_mul_f32_e32 v6, 0xbeedf032, v18
	s_delay_alu instid0(VALU_DEP_4) | instskip(NEXT) | instid1(VALU_DEP_4)
	v_dual_mul_f32 v25, 0xbf6f5d39, v18 :: v_dual_mul_f32 v28, 0xbf6f5d39, v20
	v_dual_add_f32 v5, v29, v5 :: v_dual_mul_f32 v22, 0xbf7e222b, v18
	v_mul_f32_e32 v26, 0xbf29c268, v18
	s_delay_alu instid0(VALU_DEP_3) | instskip(NEXT) | instid1(VALU_DEP_3)
	v_dual_fmamk_f32 v48, v17, 0xbeb58ec6, v25 :: v_dual_fmamk_f32 v51, v19, 0xbeb58ec6, v28
	v_add_f32_e32 v5, v15, v5
	s_delay_alu instid0(VALU_DEP_4) | instskip(SKIP_1) | instid1(VALU_DEP_4)
	v_fmamk_f32 v47, v17, 0x3df6dbef, v22
	v_fma_f32 v22, 0x3df6dbef, v17, -v22
	v_dual_add_f32 v48, v48, v31 :: v_dual_fmamk_f32 v45, v17, 0x3f62ad3f, v6
	s_delay_alu instid0(VALU_DEP_4) | instskip(SKIP_1) | instid1(VALU_DEP_4)
	v_add_f32_e32 v5, v11, v5
	v_fma_f32 v6, 0x3f62ad3f, v17, -v6
	v_dual_add_f32 v22, v22, v31 :: v_dual_mul_f32 v21, 0xbf52af12, v18
	v_mul_f32_e32 v18, 0xbe750f2a, v18
	s_delay_alu instid0(VALU_DEP_4) | instskip(SKIP_2) | instid1(VALU_DEP_4)
	v_dual_mul_f32 v44, 0xbe750f2a, v20 :: v_dual_add_f32 v5, v7, v5
	v_add_f32_e32 v47, v47, v31
	v_add_f32_e32 v6, v6, v31
	v_fmamk_f32 v50, v17, 0xbf788fa5, v18
	v_fma_f32 v25, 0xbeb58ec6, v17, -v25
	v_add_f32_e32 v5, v9, v5
	v_fmamk_f32 v49, v17, 0xbf3f9e67, v26
	v_fma_f32 v26, 0xbf3f9e67, v17, -v26
	v_add_f32_e32 v50, v50, v31
	s_wait_alu 0xf1ff
	v_cndmask_b32_e64 v43, 0, 0x152, s0
	v_add_f32_e32 v5, v13, v5
	v_fmamk_f32 v46, v17, 0x3f116cb1, v21
	v_fma_f32 v21, 0x3f116cb1, v17, -v21
	v_fma_f32 v17, 0xbf788fa5, v17, -v18
	s_delay_alu instid0(VALU_DEP_4) | instskip(NEXT) | instid1(VALU_DEP_4)
	v_dual_add_f32 v26, v26, v31 :: v_dual_add_f32 v5, v23, v5
	v_dual_mul_f32 v27, 0xbf52af12, v20 :: v_dual_add_f32 v46, v46, v31
	v_add_f32_e32 v49, v49, v31
	v_cmp_gt_u32_e64 s0, 13, v4
	s_delay_alu instid0(VALU_DEP_3) | instskip(SKIP_2) | instid1(VALU_DEP_2)
	v_dual_add_f32 v5, v33, v5 :: v_dual_fmamk_f32 v18, v19, 0x3f116cb1, v27
	v_fma_f32 v27, 0x3f116cb1, v19, -v27
	v_add_f32_e32 v45, v45, v31
	v_dual_add_f32 v5, v37, v5 :: v_dual_add_f32 v6, v27, v6
	s_delay_alu instid0(VALU_DEP_2) | instskip(NEXT) | instid1(VALU_DEP_2)
	v_dual_add_f32 v21, v21, v31 :: v_dual_add_f32 v18, v18, v45
	v_add_f32_e32 v45, v35, v5
	v_fma_f32 v5, 0xbeb58ec6, v19, -v28
	v_add_f32_e32 v28, v51, v46
	v_mul_f32_e32 v46, 0x3f7e222b, v20
	v_mul_f32_e32 v27, 0x3f29c268, v20
	v_add_f32_e32 v25, v25, v31
	v_add_f32_e32 v17, v17, v31
	v_fmamk_f32 v31, v19, 0xbf788fa5, v44
	v_add_f32_e32 v5, v5, v21
	v_fma_f32 v21, 0xbf788fa5, v19, -v44
	v_fmamk_f32 v44, v19, 0xbf3f9e67, v27
	s_delay_alu instid0(VALU_DEP_2) | instskip(NEXT) | instid1(VALU_DEP_2)
	v_dual_mul_f32 v20, 0x3eedf032, v20 :: v_dual_add_f32 v21, v21, v22
	v_add_f32_e32 v22, v44, v48
	v_fmamk_f32 v44, v19, 0x3df6dbef, v46
	v_fma_f32 v46, 0x3df6dbef, v19, -v46
	s_delay_alu instid0(VALU_DEP_2) | instskip(SKIP_4) | instid1(VALU_DEP_4)
	v_add_f32_e32 v44, v44, v49
	v_fma_f32 v27, 0xbf3f9e67, v19, -v27
	v_fmamk_f32 v49, v19, 0x3f62ad3f, v20
	v_fma_f32 v19, 0x3f62ad3f, v19, -v20
	v_dual_add_f32 v20, v46, v26 :: v_dual_add_f32 v31, v31, v47
	v_add_f32_e32 v25, v27, v25
	v_add_f32_e32 v47, v29, v33
	v_sub_f32_e32 v27, v30, v34
	s_delay_alu instid0(VALU_DEP_1) | instskip(SKIP_1) | instid1(VALU_DEP_2)
	v_mul_f32_e32 v48, 0xbf7e222b, v27
	v_mul_f32_e32 v46, 0xbe750f2a, v27
	v_fmamk_f32 v26, v47, 0x3df6dbef, v48
	s_delay_alu instid0(VALU_DEP_1) | instskip(NEXT) | instid1(VALU_DEP_3)
	v_add_f32_e32 v18, v26, v18
	v_fmamk_f32 v26, v47, 0xbf788fa5, v46
	v_add_f32_e32 v17, v19, v17
	v_fma_f32 v19, 0x3df6dbef, v47, -v48
	v_mul_f32_e32 v48, 0x3f6f5d39, v27
	v_fma_f32 v46, 0xbf788fa5, v47, -v46
	v_dual_add_f32 v26, v26, v28 :: v_dual_add_f32 v49, v49, v50
	s_delay_alu instid0(VALU_DEP_4) | instskip(NEXT) | instid1(VALU_DEP_3)
	v_dual_add_f32 v6, v19, v6 :: v_dual_mul_f32 v19, 0x3eedf032, v27
	v_dual_fmamk_f32 v28, v47, 0xbeb58ec6, v48 :: v_dual_add_f32 v5, v46, v5
	v_fma_f32 v46, 0xbeb58ec6, v47, -v48
	s_delay_alu instid0(VALU_DEP_3) | instskip(SKIP_1) | instid1(VALU_DEP_4)
	v_fmamk_f32 v48, v47, 0x3f62ad3f, v19
	v_fma_f32 v19, 0x3f62ad3f, v47, -v19
	v_add_f32_e32 v28, v28, v31
	s_delay_alu instid0(VALU_DEP_3) | instskip(SKIP_1) | instid1(VALU_DEP_2)
	v_dual_mul_f32 v31, 0xbf52af12, v27 :: v_dual_add_f32 v22, v48, v22
	v_dual_add_f32 v21, v46, v21 :: v_dual_add_f32 v48, v15, v23
	v_fmamk_f32 v46, v47, 0x3f116cb1, v31
	v_add_f32_e32 v19, v19, v25
	v_sub_f32_e32 v25, v16, v24
	v_fma_f32 v31, 0x3f116cb1, v47, -v31
	s_delay_alu instid0(VALU_DEP_4) | instskip(NEXT) | instid1(VALU_DEP_3)
	v_dual_mul_f32 v27, 0xbf29c268, v27 :: v_dual_add_f32 v44, v46, v44
	v_mul_f32_e32 v50, 0xbf6f5d39, v25
	s_delay_alu instid0(VALU_DEP_3) | instskip(NEXT) | instid1(VALU_DEP_3)
	v_add_f32_e32 v20, v31, v20
	v_fmamk_f32 v46, v47, 0xbf3f9e67, v27
	v_fma_f32 v27, 0xbf3f9e67, v47, -v27
	s_delay_alu instid0(VALU_DEP_2) | instskip(SKIP_1) | instid1(VALU_DEP_3)
	v_dual_fmamk_f32 v31, v48, 0xbeb58ec6, v50 :: v_dual_add_f32 v46, v46, v49
	v_mul_f32_e32 v47, 0x3f29c268, v25
	v_add_f32_e32 v17, v27, v17
	s_delay_alu instid0(VALU_DEP_2) | instskip(SKIP_2) | instid1(VALU_DEP_2)
	v_dual_add_f32 v18, v31, v18 :: v_dual_fmamk_f32 v27, v48, 0xbf3f9e67, v47
	v_mul_f32_e32 v31, 0x3eedf032, v25
	v_fma_f32 v47, 0xbf3f9e67, v48, -v47
	v_dual_add_f32 v26, v27, v26 :: v_dual_fmamk_f32 v27, v48, 0x3f62ad3f, v31
	v_fma_f32 v31, 0x3f62ad3f, v48, -v31
	s_delay_alu instid0(VALU_DEP_2) | instskip(SKIP_1) | instid1(VALU_DEP_3)
	v_add_f32_e32 v27, v27, v28
	v_fma_f32 v49, 0xbeb58ec6, v48, -v50
	v_add_f32_e32 v21, v31, v21
	v_dual_mul_f32 v28, 0x3e750f2a, v25 :: v_dual_sub_f32 v31, v12, v14
	s_delay_alu instid0(VALU_DEP_3) | instskip(SKIP_1) | instid1(VALU_DEP_3)
	v_dual_add_f32 v5, v47, v5 :: v_dual_add_f32 v6, v49, v6
	v_mul_f32_e32 v49, 0xbf7e222b, v25
	v_mul_f32_e32 v50, 0xbf29c268, v31
	s_delay_alu instid0(VALU_DEP_2) | instskip(NEXT) | instid1(VALU_DEP_1)
	v_fmamk_f32 v47, v48, 0x3df6dbef, v49
	v_dual_add_f32 v22, v47, v22 :: v_dual_fmamk_f32 v47, v48, 0xbf788fa5, v28
	v_fma_f32 v28, 0xbf788fa5, v48, -v28
	s_delay_alu instid0(VALU_DEP_2) | instskip(SKIP_1) | instid1(VALU_DEP_3)
	v_add_f32_e32 v44, v47, v44
	v_fma_f32 v49, 0x3df6dbef, v48, -v49
	v_dual_add_f32 v20, v28, v20 :: v_dual_mul_f32 v47, 0x3f7e222b, v31
	s_delay_alu instid0(VALU_DEP_2) | instskip(SKIP_1) | instid1(VALU_DEP_1)
	v_add_f32_e32 v19, v49, v19
	v_add_f32_e32 v49, v11, v13
	v_fmamk_f32 v28, v49, 0xbf3f9e67, v50
	s_delay_alu instid0(VALU_DEP_1) | instskip(NEXT) | instid1(VALU_DEP_1)
	v_dual_mul_f32 v25, 0x3f52af12, v25 :: v_dual_add_f32 v18, v28, v18
	v_fmamk_f32 v51, v48, 0x3f116cb1, v25
	v_fma_f32 v25, 0x3f116cb1, v48, -v25
	v_fma_f32 v48, 0xbf3f9e67, v49, -v50
	s_delay_alu instid0(VALU_DEP_2) | instskip(NEXT) | instid1(VALU_DEP_2)
	v_add_f32_e32 v17, v25, v17
	v_dual_mul_f32 v25, 0xbf52af12, v31 :: v_dual_add_f32 v6, v48, v6
	v_fmamk_f32 v28, v49, 0x3df6dbef, v47
	v_mul_f32_e32 v48, 0x3e750f2a, v31
	s_delay_alu instid0(VALU_DEP_3) | instskip(SKIP_1) | instid1(VALU_DEP_4)
	v_fmamk_f32 v50, v49, 0x3f116cb1, v25
	v_fma_f32 v25, 0x3f116cb1, v49, -v25
	v_add_f32_e32 v26, v28, v26
	v_fma_f32 v47, 0x3df6dbef, v49, -v47
	s_delay_alu instid0(VALU_DEP_3) | instskip(NEXT) | instid1(VALU_DEP_2)
	v_add_f32_e32 v21, v25, v21
	v_dual_mul_f32 v25, 0x3eedf032, v31 :: v_dual_add_f32 v28, v47, v5
	v_fmamk_f32 v5, v49, 0xbf788fa5, v48
	v_fma_f32 v47, 0xbf788fa5, v49, -v48
	v_add_f32_e32 v46, v51, v46
	s_delay_alu instid0(VALU_DEP_2)
	v_dual_add_f32 v22, v5, v22 :: v_dual_add_f32 v19, v47, v19
	v_fmamk_f32 v47, v49, 0x3f62ad3f, v25
	v_fma_f32 v25, 0x3f62ad3f, v49, -v25
	v_mul_f32_e32 v5, 0xbf6f5d39, v31
	v_sub_f32_e32 v31, v8, v10
	v_dual_add_f32 v27, v50, v27 :: v_dual_add_f32 v50, v7, v9
	s_delay_alu instid0(VALU_DEP_4) | instskip(NEXT) | instid1(VALU_DEP_4)
	v_add_f32_e32 v20, v25, v20
	v_fmamk_f32 v48, v49, 0xbeb58ec6, v5
	s_delay_alu instid0(VALU_DEP_4) | instskip(SKIP_2) | instid1(VALU_DEP_4)
	v_dual_mul_f32 v51, 0xbe750f2a, v31 :: v_dual_add_f32 v44, v47, v44
	v_fma_f32 v5, 0xbeb58ec6, v49, -v5
	v_mul_f32_e32 v47, 0x3eedf032, v31
	v_add_f32_e32 v25, v48, v46
	s_delay_alu instid0(VALU_DEP_4) | instskip(SKIP_2) | instid1(VALU_DEP_3)
	v_fma_f32 v48, 0xbf788fa5, v50, -v51
	v_mul_f32_e32 v49, 0xbf29c268, v31
	v_add_f32_e32 v17, v5, v17
	v_add_f32_e32 v5, v48, v6
	v_fma_f32 v6, 0x3f62ad3f, v50, -v47
	v_mul_f32_e32 v48, 0x3f52af12, v31
	s_delay_alu instid0(VALU_DEP_2) | instskip(NEXT) | instid1(VALU_DEP_2)
	v_add_f32_e32 v6, v6, v28
	v_fmamk_f32 v28, v50, 0x3f116cb1, v48
	s_delay_alu instid0(VALU_DEP_1) | instskip(SKIP_2) | instid1(VALU_DEP_2)
	v_add_f32_e32 v22, v28, v22
	v_fmamk_f32 v46, v50, 0xbf788fa5, v51
	v_lshl_add_u32 v28, v43, 2, 0
	v_add_f32_e32 v18, v46, v18
	v_fmamk_f32 v46, v50, 0x3f62ad3f, v47
	v_fmamk_f32 v47, v50, 0xbf3f9e67, v49
	s_delay_alu instid0(VALU_DEP_2) | instskip(SKIP_1) | instid1(VALU_DEP_3)
	v_add_f32_e32 v26, v46, v26
	v_fma_f32 v46, 0xbf3f9e67, v50, -v49
	v_add_f32_e32 v27, v47, v27
	v_fma_f32 v47, 0x3f116cb1, v50, -v48
	s_delay_alu instid0(VALU_DEP_3) | instskip(SKIP_1) | instid1(VALU_DEP_3)
	v_dual_add_f32 v21, v46, v21 :: v_dual_mul_f32 v46, 0xbf6f5d39, v31
	v_mul_f32_e32 v31, 0x3f7e222b, v31
	v_add_f32_e32 v19, v47, v19
	s_delay_alu instid0(VALU_DEP_3) | instskip(NEXT) | instid1(VALU_DEP_3)
	v_fmamk_f32 v47, v50, 0xbeb58ec6, v46
	v_fmamk_f32 v48, v50, 0x3df6dbef, v31
	v_fma_f32 v49, 0x3df6dbef, v50, -v31
	v_fma_f32 v46, 0xbeb58ec6, v50, -v46
	v_mad_u32_u24 v31, v4, 52, v28
	s_delay_alu instid0(VALU_DEP_4) | instskip(NEXT) | instid1(VALU_DEP_3)
	v_dual_add_f32 v44, v47, v44 :: v_dual_add_f32 v25, v48, v25
	v_dual_add_f32 v17, v49, v17 :: v_dual_add_f32 v20, v46, v20
	ds_store_2addr_b32 v31, v45, v18 offset1:1
	ds_store_2addr_b32 v31, v26, v27 offset0:2 offset1:3
	ds_store_2addr_b32 v31, v22, v44 offset0:4 offset1:5
	ds_store_2addr_b32 v31, v25, v17 offset0:6 offset1:7
	ds_store_2addr_b32 v31, v20, v19 offset0:8 offset1:9
	ds_store_2addr_b32 v31, v21, v6 offset0:10 offset1:11
	ds_store_b32 v31, v5 offset:48
	v_mad_i32_i24 v44, 0xffffffd0, v4, v31
	global_wb scope:SCOPE_SE
	s_wait_dscnt 0x0
	s_barrier_signal -1
	s_barrier_wait -1
	global_inv scope:SCOPE_SE
	v_add_nc_u32_e32 v48, 0x200, v44
	v_lshl_add_u32 v45, v4, 2, v28
	ds_load_2addr_b32 v[21:22], v44 offset0:130 offset1:169
	ds_load_2addr_b32 v[25:26], v44 offset0:26 offset1:52
	;; [unrolled: 1-line block ×5, first 2 shown]
	ds_load_b32 v47, v45
	ds_load_b32 v46, v44 offset:1196
	s_and_saveexec_b32 s1, s0
	s_cbranch_execz .LBB0_13
; %bb.12:
	ds_load_2addr_b32 v[5:6], v48 offset0:28 offset1:197
.LBB0_13:
	s_wait_alu 0xfffe
	s_or_b32 exec_lo, exec_lo, s1
	v_add_f32_e32 v49, v42, v32
	v_sub_f32_e32 v37, v39, v37
	v_sub_f32_e32 v35, v41, v35
	global_wb scope:SCOPE_SE
	s_wait_dscnt 0x0
	s_barrier_signal -1
	s_barrier_wait -1
	v_dual_mul_f32 v54, 0xbf6f5d39, v37 :: v_dual_add_f32 v41, v42, v36
	v_add_f32_e32 v42, v40, v38
	v_dual_add_f32 v39, v40, v49 :: v_dual_mul_f32 v52, 0xbf29c268, v35
	v_mul_f32_e32 v50, 0xbf7e222b, v35
	v_mul_f32_e32 v40, 0xbeedf032, v35
	s_delay_alu instid0(VALU_DEP_3) | instskip(NEXT) | instid1(VALU_DEP_4)
	v_dual_mul_f32 v56, 0x3f29c268, v37 :: v_dual_add_f32 v39, v30, v39
	v_fma_f32 v61, 0xbf3f9e67, v41, -v52
	s_delay_alu instid0(VALU_DEP_4) | instskip(NEXT) | instid1(VALU_DEP_4)
	v_fma_f32 v59, 0x3df6dbef, v41, -v50
	v_fma_f32 v57, 0x3f62ad3f, v41, -v40
	s_delay_alu instid0(VALU_DEP_4) | instskip(SKIP_3) | instid1(VALU_DEP_4)
	v_dual_fmac_f32 v40, 0x3f62ad3f, v41 :: v_dual_add_f32 v39, v16, v39
	v_mul_f32_e32 v49, 0xbf52af12, v35
	v_fmac_f32_e32 v50, 0x3df6dbef, v41
	v_fma_f32 v63, 0xbeb58ec6, v42, -v54
	v_add_f32_e32 v40, v40, v32
	v_add_f32_e32 v39, v12, v39
	v_fma_f32 v58, 0x3f116cb1, v41, -v49
	v_mul_f32_e32 v51, 0xbf6f5d39, v35
	v_dual_mul_f32 v35, 0xbe750f2a, v35 :: v_dual_add_f32 v50, v50, v32
	s_delay_alu instid0(VALU_DEP_4) | instskip(SKIP_1) | instid1(VALU_DEP_3)
	v_dual_add_f32 v39, v8, v39 :: v_dual_fmac_f32 v52, 0xbf3f9e67, v41
	v_fmac_f32_e32 v54, 0xbeb58ec6, v42
	v_fma_f32 v62, 0xbf788fa5, v41, -v35
	v_fmac_f32_e32 v35, 0xbf788fa5, v41
	s_delay_alu instid0(VALU_DEP_4)
	v_add_f32_e32 v39, v10, v39
	v_add_f32_e32 v58, v58, v32
	v_fma_f32 v60, 0xbeb58ec6, v41, -v51
	v_fmac_f32_e32 v51, 0xbeb58ec6, v41
	v_mul_f32_e32 v53, 0xbf52af12, v37
	v_add_f32_e32 v39, v14, v39
	v_dual_mul_f32 v55, 0xbe750f2a, v37 :: v_dual_add_f32 v52, v52, v32
	v_add_f32_e32 v57, v57, v32
	v_add_f32_e32 v60, v60, v32
	s_delay_alu instid0(VALU_DEP_4) | instskip(SKIP_3) | instid1(VALU_DEP_4)
	v_add_f32_e32 v39, v24, v39
	v_dual_add_f32 v51, v51, v32 :: v_dual_add_f32 v30, v30, v34
	v_sub_f32_e32 v29, v29, v33
	v_add_f32_e32 v61, v61, v32
	v_add_f32_e32 v39, v34, v39
	v_fmac_f32_e32 v49, 0x3f116cb1, v41
	v_fma_f32 v41, 0x3f116cb1, v42, -v53
	v_mul_f32_e32 v34, 0xbf7e222b, v29
	global_inv scope:SCOPE_SE
	v_dual_add_f32 v38, v38, v39 :: v_dual_add_f32 v49, v49, v32
	v_add_f32_e32 v39, v62, v32
	v_dual_add_f32 v16, v16, v24 :: v_dual_sub_f32 v15, v15, v23
	s_delay_alu instid0(VALU_DEP_3) | instskip(SKIP_3) | instid1(VALU_DEP_3)
	v_dual_add_f32 v36, v36, v38 :: v_dual_add_f32 v49, v54, v49
	v_dual_mul_f32 v54, 0x3f7e222b, v37 :: v_dual_add_f32 v59, v59, v32
	v_add_f32_e32 v38, v63, v58
	v_dual_add_f32 v12, v12, v14 :: v_dual_sub_f32 v9, v7, v9
	v_fma_f32 v33, 0x3df6dbef, v42, -v54
	v_fmac_f32_e32 v54, 0x3df6dbef, v42
	v_fmac_f32_e32 v53, 0x3f116cb1, v42
	v_add_f32_e32 v8, v8, v10
	s_delay_alu instid0(VALU_DEP_2) | instskip(SKIP_4) | instid1(VALU_DEP_3)
	v_add_f32_e32 v40, v53, v40
	v_dual_add_f32 v32, v35, v32 :: v_dual_add_f32 v35, v41, v57
	v_fma_f32 v41, 0xbf788fa5, v42, -v55
	v_fmac_f32_e32 v55, 0xbf788fa5, v42
	v_fma_f32 v53, 0xbf3f9e67, v42, -v56
	v_dual_fmac_f32 v56, 0xbf3f9e67, v42 :: v_dual_add_f32 v41, v41, v59
	s_delay_alu instid0(VALU_DEP_3) | instskip(NEXT) | instid1(VALU_DEP_1)
	v_dual_add_f32 v50, v55, v50 :: v_dual_mul_f32 v37, 0x3eedf032, v37
	v_fma_f32 v55, 0x3f62ad3f, v42, -v37
	v_dual_fmac_f32 v37, 0x3f62ad3f, v42 :: v_dual_add_f32 v42, v54, v52
	v_fma_f32 v52, 0x3df6dbef, v30, -v34
	v_mul_f32_e32 v54, 0xbe750f2a, v29
	v_fmac_f32_e32 v34, 0x3df6dbef, v30
	s_delay_alu instid0(VALU_DEP_4)
	v_add_f32_e32 v32, v37, v32
	v_add_f32_e32 v53, v53, v60
	;; [unrolled: 1-line block ×3, first 2 shown]
	v_fma_f32 v37, 0xbf788fa5, v30, -v54
	v_mul_f32_e32 v52, 0x3f6f5d39, v29
	v_fmac_f32_e32 v54, 0xbf788fa5, v30
	s_delay_alu instid0(VALU_DEP_3) | instskip(NEXT) | instid1(VALU_DEP_3)
	v_dual_add_f32 v34, v34, v40 :: v_dual_add_f32 v37, v37, v38
	v_fma_f32 v38, 0xbeb58ec6, v30, -v52
	v_dual_fmac_f32 v52, 0xbeb58ec6, v30 :: v_dual_add_f32 v51, v56, v51
	v_mul_f32_e32 v40, 0x3eedf032, v29
	v_add_f32_e32 v49, v54, v49
	s_delay_alu instid0(VALU_DEP_4)
	v_add_f32_e32 v38, v38, v41
	v_mul_f32_e32 v41, 0xbf52af12, v29
	v_add_f32_e32 v33, v33, v61
	v_fma_f32 v54, 0x3f62ad3f, v30, -v40
	v_dual_fmac_f32 v40, 0x3f62ad3f, v30 :: v_dual_add_f32 v39, v55, v39
	v_add_f32_e32 v50, v52, v50
	v_fma_f32 v23, 0x3f116cb1, v30, -v41
	s_delay_alu instid0(VALU_DEP_4) | instskip(SKIP_2) | instid1(VALU_DEP_4)
	v_add_f32_e32 v52, v54, v53
	v_mul_f32_e32 v29, 0xbf29c268, v29
	v_fmac_f32_e32 v41, 0x3f116cb1, v30
	v_dual_mul_f32 v24, 0xbf6f5d39, v15 :: v_dual_add_f32 v23, v23, v33
	v_add_f32_e32 v40, v40, v51
	s_delay_alu instid0(VALU_DEP_4) | instskip(SKIP_4) | instid1(VALU_DEP_4)
	v_fma_f32 v33, 0xbf3f9e67, v30, -v29
	v_fmac_f32_e32 v29, 0xbf3f9e67, v30
	v_add_f32_e32 v30, v41, v42
	v_fma_f32 v41, 0xbeb58ec6, v16, -v24
	v_fmac_f32_e32 v24, 0xbeb58ec6, v16
	v_dual_mul_f32 v42, 0x3f29c268, v15 :: v_dual_add_f32 v29, v29, v32
	s_delay_alu instid0(VALU_DEP_3) | instskip(NEXT) | instid1(VALU_DEP_3)
	v_dual_sub_f32 v11, v11, v13 :: v_dual_add_f32 v32, v41, v35
	v_add_f32_e32 v24, v24, v34
	s_delay_alu instid0(VALU_DEP_3) | instskip(SKIP_1) | instid1(VALU_DEP_2)
	v_fma_f32 v35, 0xbf3f9e67, v16, -v42
	v_fmac_f32_e32 v42, 0xbf3f9e67, v16
	v_dual_mul_f32 v34, 0xbf7e222b, v15 :: v_dual_add_f32 v35, v35, v37
	v_add_f32_e32 v33, v33, v39
	s_delay_alu instid0(VALU_DEP_3) | instskip(NEXT) | instid1(VALU_DEP_3)
	v_add_f32_e32 v41, v42, v49
	v_fma_f32 v42, 0x3df6dbef, v16, -v34
	v_fmac_f32_e32 v34, 0x3df6dbef, v16
	s_delay_alu instid0(VALU_DEP_2) | instskip(NEXT) | instid1(VALU_DEP_2)
	v_dual_mul_f32 v39, 0x3eedf032, v15 :: v_dual_add_f32 v42, v42, v52
	v_add_f32_e32 v34, v34, v40
	s_delay_alu instid0(VALU_DEP_2) | instskip(SKIP_1) | instid1(VALU_DEP_2)
	v_fma_f32 v37, 0x3f62ad3f, v16, -v39
	v_fmac_f32_e32 v39, 0x3f62ad3f, v16
	v_dual_add_f32 v37, v37, v38 :: v_dual_mul_f32 v38, 0x3e750f2a, v15
	v_mul_f32_e32 v15, 0x3f52af12, v15
	s_delay_alu instid0(VALU_DEP_2) | instskip(SKIP_1) | instid1(VALU_DEP_1)
	v_fma_f32 v13, 0xbf788fa5, v16, -v38
	v_fmac_f32_e32 v38, 0xbf788fa5, v16
	v_add_f32_e32 v30, v38, v30
	v_dual_add_f32 v39, v39, v50 :: v_dual_mul_f32 v14, 0xbf29c268, v11
	s_delay_alu instid0(VALU_DEP_4) | instskip(SKIP_4) | instid1(VALU_DEP_4)
	v_add_f32_e32 v13, v13, v23
	v_fma_f32 v23, 0x3f116cb1, v16, -v15
	v_fmac_f32_e32 v15, 0x3f116cb1, v16
	v_mul_f32_e32 v38, 0x3f7e222b, v11
	v_fma_f32 v16, 0xbf3f9e67, v12, -v14
	v_dual_fmac_f32 v14, 0xbf3f9e67, v12 :: v_dual_add_f32 v23, v23, v33
	s_delay_alu instid0(VALU_DEP_2) | instskip(SKIP_1) | instid1(VALU_DEP_3)
	v_dual_mul_f32 v7, 0xbf6f5d39, v11 :: v_dual_add_f32 v16, v16, v32
	v_mul_f32_e32 v32, 0xbf52af12, v11
	v_add_f32_e32 v14, v14, v24
	s_delay_alu instid0(VALU_DEP_2) | instskip(SKIP_1) | instid1(VALU_DEP_2)
	v_fma_f32 v33, 0x3f116cb1, v12, -v32
	v_fmac_f32_e32 v32, 0x3f116cb1, v12
	v_dual_mul_f32 v24, 0x3e750f2a, v11 :: v_dual_add_f32 v33, v33, v37
	s_delay_alu instid0(VALU_DEP_2) | instskip(SKIP_1) | instid1(VALU_DEP_1)
	v_dual_add_f32 v32, v32, v39 :: v_dual_add_f32 v15, v15, v29
	v_fma_f32 v29, 0x3df6dbef, v12, -v38
	v_dual_fmac_f32 v38, 0x3df6dbef, v12 :: v_dual_add_f32 v29, v29, v35
	s_delay_alu instid0(VALU_DEP_1) | instskip(SKIP_1) | instid1(VALU_DEP_1)
	v_add_f32_e32 v35, v38, v41
	v_fma_f32 v38, 0xbf788fa5, v12, -v24
	v_dual_mul_f32 v37, 0x3eedf032, v11 :: v_dual_add_f32 v38, v38, v42
	s_delay_alu instid0(VALU_DEP_1) | instskip(SKIP_3) | instid1(VALU_DEP_3)
	v_fma_f32 v11, 0x3f62ad3f, v12, -v37
	v_fmac_f32_e32 v24, 0xbf788fa5, v12
	v_fmac_f32_e32 v37, 0x3f62ad3f, v12
	v_mul_f32_e32 v10, 0xbe750f2a, v9
	v_dual_add_f32 v11, v11, v13 :: v_dual_add_f32 v24, v24, v34
	v_fma_f32 v34, 0xbeb58ec6, v12, -v7
	s_delay_alu instid0(VALU_DEP_4) | instskip(NEXT) | instid1(VALU_DEP_2)
	v_dual_add_f32 v13, v37, v30 :: v_dual_mul_f32 v30, 0x3eedf032, v9
	v_add_f32_e32 v23, v34, v23
	s_delay_alu instid0(VALU_DEP_2) | instskip(NEXT) | instid1(VALU_DEP_1)
	v_fma_f32 v34, 0x3f62ad3f, v8, -v30
	v_dual_fmac_f32 v30, 0x3f62ad3f, v8 :: v_dual_add_f32 v29, v34, v29
	s_delay_alu instid0(VALU_DEP_1) | instskip(SKIP_1) | instid1(VALU_DEP_2)
	v_dual_fmac_f32 v7, 0xbeb58ec6, v12 :: v_dual_add_f32 v30, v30, v35
	v_fma_f32 v12, 0xbf788fa5, v8, -v10
	v_dual_fmac_f32 v10, 0xbf788fa5, v8 :: v_dual_add_f32 v15, v7, v15
	s_delay_alu instid0(VALU_DEP_1) | instskip(SKIP_2) | instid1(VALU_DEP_2)
	v_dual_add_f32 v12, v12, v16 :: v_dual_add_f32 v7, v10, v14
	v_mul_f32_e32 v16, 0xbf29c268, v9
	v_mul_f32_e32 v10, 0x3f52af12, v9
	v_fma_f32 v14, 0xbf3f9e67, v8, -v16
	v_fmac_f32_e32 v16, 0xbf3f9e67, v8
	s_delay_alu instid0(VALU_DEP_2) | instskip(NEXT) | instid1(VALU_DEP_2)
	v_add_f32_e32 v14, v14, v33
	v_dual_mul_f32 v33, 0xbf6f5d39, v9 :: v_dual_add_f32 v16, v16, v32
	v_mul_f32_e32 v9, 0x3f7e222b, v9
	s_delay_alu instid0(VALU_DEP_1) | instskip(SKIP_1) | instid1(VALU_DEP_1)
	v_fma_f32 v35, 0x3df6dbef, v8, -v9
	v_fmac_f32_e32 v9, 0x3df6dbef, v8
	v_add_f32_e32 v9, v9, v15
	v_fma_f32 v34, 0x3f116cb1, v8, -v10
	v_fmac_f32_e32 v10, 0x3f116cb1, v8
	s_delay_alu instid0(VALU_DEP_2) | instskip(SKIP_2) | instid1(VALU_DEP_4)
	v_add_f32_e32 v32, v34, v38
	v_fma_f32 v34, 0xbeb58ec6, v8, -v33
	v_fmac_f32_e32 v33, 0xbeb58ec6, v8
	v_add_f32_e32 v8, v10, v24
	s_delay_alu instid0(VALU_DEP_2)
	v_dual_add_f32 v10, v34, v11 :: v_dual_add_f32 v11, v33, v13
	v_add_f32_e32 v13, v35, v23
	ds_store_2addr_b32 v31, v36, v12 offset1:1
	ds_store_2addr_b32 v31, v29, v14 offset0:2 offset1:3
	ds_store_2addr_b32 v31, v32, v10 offset0:4 offset1:5
	;; [unrolled: 1-line block ×5, first 2 shown]
	ds_store_b32 v31, v7 offset:48
	global_wb scope:SCOPE_SE
	s_wait_dscnt 0x0
	s_barrier_signal -1
	s_barrier_wait -1
	global_inv scope:SCOPE_SE
	ds_load_2addr_b32 v[9:10], v44 offset0:130 offset1:169
	ds_load_2addr_b32 v[11:12], v44 offset0:26 offset1:52
	;; [unrolled: 1-line block ×5, first 2 shown]
	ds_load_b32 v48, v45
	ds_load_b32 v49, v44 offset:1196
	s_and_saveexec_b32 s1, s0
	s_cbranch_execz .LBB0_15
; %bb.14:
	v_add_nc_u32_e32 v7, 0x200, v44
	ds_load_2addr_b32 v[7:8], v7 offset0:28 offset1:197
.LBB0_15:
	s_wait_alu 0xfffe
	s_or_b32 exec_lo, exec_lo, s1
	v_add_nc_u16 v31, v4, 26
	v_add_nc_u32_e32 v29, -13, v4
	v_mov_b32_e32 v51, 0
	v_add_nc_u16 v33, v4, 0x4e
	v_add_nc_u16 v34, v4, 0x68
	v_and_b32_e32 v30, 0xff, v31
	v_cndmask_b32_e64 v50, v29, v4, s0
	v_add_nc_u16 v35, v4, 0x82
	v_and_b32_e32 v38, 0xff, v33
	v_and_b32_e32 v39, 0xff, v34
	v_mul_lo_u16 v37, 0x4f, v30
	v_lshlrev_b64_e32 v[29:30], 3, v[50:51]
	v_add_nc_u16 v32, v4, 52
	v_add_nc_u16 v57, v4, 0x9c
	v_lshlrev_b32_e32 v43, 2, v43
	v_lshrrev_b16 v51, 10, v37
	v_mul_lo_u16 v37, 0x4f, v38
	v_add_co_u32 v29, s1, s4, v29
	s_wait_alu 0xf1ff
	v_add_co_ci_u32_e64 v30, s1, s5, v30, s1
	v_mul_lo_u16 v38, 0x4f, v39
	v_lshrrev_b16 v53, 10, v37
	v_cmp_lt_u32_e64 s1, 12, v4
	global_load_b64 v[41:42], v[29:30], off
	v_and_b32_e32 v40, 0xff, v35
	v_and_b32_e32 v36, 0xff, v32
	v_lshrrev_b16 v54, 10, v38
	s_wait_alu 0xf1ff
	v_cndmask_b32_e64 v62, 0, 0x68, s1
	v_lshlrev_b32_e32 v50, 2, v50
	v_mul_lo_u16 v39, 0x4f, v40
	v_mul_lo_u16 v40, v51, 13
	;; [unrolled: 1-line block ×3, first 2 shown]
	v_and_b32_e32 v54, 0xffff, v54
	v_and_b32_e32 v51, 0xffff, v51
	v_lshrrev_b16 v55, 10, v39
	v_sub_nc_u16 v31, v31, v40
	s_delay_alu instid0(VALU_DEP_4) | instskip(NEXT) | instid1(VALU_DEP_3)
	v_mad_u32_u24 v65, 0x68, v54, 0
	v_mul_lo_u16 v38, v55, 13
	v_and_b32_e32 v55, 0xffff, v55
	s_delay_alu instid0(VALU_DEP_4) | instskip(NEXT) | instid1(VALU_DEP_2)
	v_and_b32_e32 v56, 0xff, v31
	v_mad_u32_u24 v66, 0x68, v55, 0
	s_delay_alu instid0(VALU_DEP_2) | instskip(SKIP_3) | instid1(VALU_DEP_2)
	v_lshlrev_b32_e32 v39, 3, v56
	s_wait_loadcnt_dscnt 0x6
	v_mul_f32_e32 v55, v10, v42
	v_mul_lo_u16 v36, 0x4f, v36
	v_fmac_f32_e32 v55, v22, v41
	s_delay_alu instid0(VALU_DEP_2) | instskip(SKIP_2) | instid1(VALU_DEP_3)
	v_lshrrev_b16 v52, 10, v36
	v_mul_lo_u16 v36, v53, 13
	v_and_b32_e32 v53, 0xffff, v53
	v_mul_lo_u16 v31, v52, 13
	s_delay_alu instid0(VALU_DEP_3)
	v_sub_nc_u16 v30, v33, v36
	v_and_b32_e32 v33, 0xff, v57
	v_and_b32_e32 v52, 0xffff, v52
	v_mad_u32_u24 v64, 0x68, v53, 0
	v_sub_nc_u16 v29, v32, v31
	v_sub_nc_u16 v31, v34, v37
	;; [unrolled: 1-line block ×3, first 2 shown]
	v_and_b32_e32 v59, 0xff, v30
	v_mad_u32_u24 v63, 0x68, v52, 0
	v_and_b32_e32 v58, 0xff, v29
	v_and_b32_e32 v60, 0xff, v31
	;; [unrolled: 1-line block ×3, first 2 shown]
	v_lshlrev_b32_e32 v31, 3, v59
	v_mul_lo_u16 v29, 0x4f, v33
	v_lshlrev_b32_e32 v30, 3, v58
	v_lshlrev_b32_e32 v33, 3, v60
	;; [unrolled: 1-line block ×3, first 2 shown]
	s_clause 0x4
	global_load_b64 v[37:38], v39, s[4:5]
	global_load_b64 v[39:40], v30, s[4:5]
	;; [unrolled: 1-line block ×5, first 2 shown]
	v_lshrrev_b16 v29, 10, v29
	v_lshlrev_b32_e32 v54, 2, v59
	v_lshlrev_b32_e32 v53, 2, v58
	s_delay_alu instid0(VALU_DEP_3) | instskip(NEXT) | instid1(VALU_DEP_3)
	v_mul_lo_u16 v29, v29, 13
	v_add3_u32 v54, v64, v54, v43
	s_delay_alu instid0(VALU_DEP_3) | instskip(NEXT) | instid1(VALU_DEP_3)
	v_add3_u32 v53, v63, v53, v43
	v_sub_nc_u16 v29, v57, v29
	s_delay_alu instid0(VALU_DEP_1) | instskip(NEXT) | instid1(VALU_DEP_1)
	v_and_b32_e32 v57, 0xff, v29
	v_lshlrev_b32_e32 v29, 3, v57
	global_load_b64 v[29:30], v29, s[4:5]
	global_wb scope:SCOPE_SE
	s_wait_loadcnt_dscnt 0x0
	s_barrier_signal -1
	s_barrier_wait -1
	global_inv scope:SCOPE_SE
	v_mul_f32_e32 v59, v24, v40
	s_delay_alu instid0(VALU_DEP_1) | instskip(SKIP_1) | instid1(VALU_DEP_1)
	v_dual_fmac_f32 v59, v20, v39 :: v_dual_lshlrev_b32 v52, 2, v56
	v_add_nc_u32_e32 v62, 0, v62
	v_add3_u32 v50, v62, v50, v43
	v_mad_u32_u24 v62, 0x68, v51, 0
	v_lshlrev_b32_e32 v51, 2, v57
	v_sub_f32_e32 v57, v47, v55
	s_delay_alu instid0(VALU_DEP_3) | instskip(SKIP_1) | instid1(VALU_DEP_3)
	v_add3_u32 v52, v62, v52, v43
	v_mul_f32_e32 v62, v49, v36
	v_fma_f32 v47, v47, 2.0, -v57
	s_delay_alu instid0(VALU_DEP_2)
	v_fmac_f32_e32 v62, v46, v35
	v_dual_mul_f32 v61, v16, v34 :: v_dual_lshlrev_b32 v58, 2, v61
	ds_store_2addr_b32 v50, v47, v57 offset1:13
	v_sub_f32_e32 v57, v26, v59
	v_dual_fmac_f32 v61, v18, v33 :: v_dual_lshlrev_b32 v56, 2, v60
	v_mul_f32_e32 v60, v15, v32
	s_delay_alu instid0(VALU_DEP_3) | instskip(NEXT) | instid1(VALU_DEP_3)
	v_fma_f32 v26, v26, 2.0, -v57
	v_sub_f32_e32 v59, v28, v61
	s_delay_alu instid0(VALU_DEP_4) | instskip(SKIP_4) | instid1(VALU_DEP_3)
	v_add3_u32 v55, v65, v56, v43
	v_add3_u32 v56, v66, v58, v43
	v_mul_f32_e32 v58, v23, v38
	v_fmac_f32_e32 v60, v17, v31
	v_fma_f32 v28, v28, 2.0, -v59
	v_fmac_f32_e32 v58, v19, v37
	s_delay_alu instid0(VALU_DEP_1) | instskip(SKIP_1) | instid1(VALU_DEP_2)
	v_dual_sub_f32 v47, v25, v58 :: v_dual_sub_f32 v58, v27, v60
	v_sub_f32_e32 v60, v21, v62
	v_fma_f32 v25, v25, 2.0, -v47
	s_delay_alu instid0(VALU_DEP_3) | instskip(NEXT) | instid1(VALU_DEP_3)
	v_fma_f32 v27, v27, 2.0, -v58
	v_fma_f32 v21, v21, 2.0, -v60
	ds_store_2addr_b32 v52, v25, v47 offset1:13
	ds_store_2addr_b32 v53, v26, v57 offset1:13
	;; [unrolled: 1-line block ×5, first 2 shown]
	s_and_saveexec_b32 s1, s0
	s_cbranch_execz .LBB0_17
; %bb.16:
	v_mul_f32_e32 v21, v8, v30
	v_add3_u32 v25, 0, v51, v43
	s_delay_alu instid0(VALU_DEP_2) | instskip(NEXT) | instid1(VALU_DEP_2)
	v_fmac_f32_e32 v21, v6, v29
	v_add_nc_u32_e32 v25, 0x400, v25
	s_delay_alu instid0(VALU_DEP_2) | instskip(NEXT) | instid1(VALU_DEP_1)
	v_sub_f32_e32 v21, v5, v21
	v_fma_f32 v5, v5, 2.0, -v21
	ds_store_2addr_b32 v25, v5, v21 offset0:56 offset1:69
.LBB0_17:
	s_wait_alu 0xfffe
	s_or_b32 exec_lo, exec_lo, s1
	v_dual_mul_f32 v5, v22, v42 :: v_dual_mul_f32 v20, v20, v40
	v_mul_f32_e32 v19, v19, v38
	v_dual_mul_f32 v17, v17, v32 :: v_dual_mul_f32 v18, v18, v34
	s_delay_alu instid0(VALU_DEP_3)
	v_fma_f32 v5, v10, v41, -v5
	v_lshlrev_b32_e32 v21, 2, v4
	v_mul_f32_e32 v10, v46, v36
	v_fma_f32 v19, v23, v37, -v19
	v_fma_f32 v27, v24, v39, -v20
	v_sub_f32_e32 v28, v48, v5
	v_add3_u32 v25, 0, v21, v43
	v_fma_f32 v31, v15, v31, -v17
	v_sub_f32_e32 v34, v11, v19
	v_fma_f32 v32, v16, v33, -v18
	v_fma_f32 v33, v49, v35, -v10
	v_add_nc_u32_e32 v5, 0x400, v25
	global_wb scope:SCOPE_SE
	s_wait_dscnt 0x0
	s_barrier_signal -1
	s_barrier_wait -1
	global_inv scope:SCOPE_SE
	ds_load_2addr_b32 v[21:22], v44 offset0:26 offset1:52
	ds_load_2addr_b32 v[19:20], v44 offset0:78 offset1:104
	ds_load_2addr_b32 v[15:16], v25 offset0:156 offset1:182
	ds_load_2addr_b32 v[17:18], v25 offset0:208 offset1:234
	ds_load_2addr_b32 v[23:24], v5 offset0:4 offset1:30
	ds_load_b32 v5, v45
	ds_load_b32 v10, v44 offset:520
	ds_load_b32 v26, v25 offset:1248
	v_dual_sub_f32 v27, v12, v27 :: v_dual_sub_f32 v32, v14, v32
	v_sub_f32_e32 v31, v13, v31
	v_fma_f32 v35, v48, 2.0, -v28
	v_sub_f32_e32 v33, v9, v33
	v_fma_f32 v11, v11, 2.0, -v34
	v_fma_f32 v12, v12, 2.0, -v27
	;; [unrolled: 1-line block ×5, first 2 shown]
	global_wb scope:SCOPE_SE
	s_wait_dscnt 0x0
	s_barrier_signal -1
	s_barrier_wait -1
	global_inv scope:SCOPE_SE
	ds_store_2addr_b32 v50, v35, v28 offset1:13
	ds_store_2addr_b32 v52, v11, v34 offset1:13
	;; [unrolled: 1-line block ×6, first 2 shown]
	s_and_saveexec_b32 s1, s0
	s_cbranch_execz .LBB0_19
; %bb.18:
	v_mul_f32_e32 v6, v6, v30
	s_delay_alu instid0(VALU_DEP_1) | instskip(SKIP_1) | instid1(VALU_DEP_2)
	v_fma_f32 v6, v8, v29, -v6
	v_add3_u32 v8, 0, v51, v43
	v_sub_f32_e32 v6, v7, v6
	s_delay_alu instid0(VALU_DEP_2) | instskip(NEXT) | instid1(VALU_DEP_2)
	v_add_nc_u32_e32 v8, 0x400, v8
	v_fma_f32 v7, v7, 2.0, -v6
	ds_store_2addr_b32 v8, v7, v6 offset0:56 offset1:69
.LBB0_19:
	s_wait_alu 0xfffe
	s_or_b32 exec_lo, exec_lo, s1
	global_wb scope:SCOPE_SE
	s_wait_dscnt 0x0
	s_barrier_signal -1
	s_barrier_wait -1
	global_inv scope:SCOPE_SE
	s_and_saveexec_b32 s0, vcc_lo
	s_cbranch_execz .LBB0_21
; %bb.20:
	v_mul_u32_u24_e32 v4, 12, v4
	v_lshlrev_b64_e32 v[2:3], 3, v[2:3]
	v_add_co_u32 v0, vcc_lo, s8, v0
	s_wait_alu 0xfffd
	v_add_co_ci_u32_e32 v1, vcc_lo, s9, v1, vcc_lo
	v_lshlrev_b32_e32 v4, 3, v4
	s_delay_alu instid0(VALU_DEP_3) | instskip(SKIP_1) | instid1(VALU_DEP_3)
	v_add_co_u32 v0, vcc_lo, v0, v2
	s_wait_alu 0xfffd
	v_add_co_ci_u32_e32 v1, vcc_lo, v1, v3, vcc_lo
	s_clause 0x5
	global_load_b128 v[11:14], v4, s[4:5] offset:104
	global_load_b128 v[27:30], v4, s[4:5] offset:184
	;; [unrolled: 1-line block ×6, first 2 shown]
	ds_load_2addr_b32 v[8:9], v44 offset0:26 offset1:52
	ds_load_b32 v4, v45
	v_add_nc_u32_e32 v6, 0x400, v25
	ds_load_2addr_b32 v[39:40], v44 offset0:78 offset1:104
	ds_load_2addr_b32 v[48:49], v25 offset0:208 offset1:234
	ds_load_b32 v31, v25 offset:1248
	ds_load_b32 v33, v44 offset:520
	ds_load_2addr_b32 v[63:64], v25 offset0:156 offset1:182
	ds_load_2addr_b32 v[45:46], v6 offset0:4 offset1:30
	s_wait_loadcnt 0x5
	v_mul_f32_e32 v25, v21, v12
	v_dual_mul_f32 v50, v21, v11 :: v_dual_mul_f32 v41, v22, v14
	s_wait_loadcnt 0x4
	v_mul_f32_e32 v7, v26, v29
	v_dual_mul_f32 v6, v26, v30 :: v_dual_mul_f32 v21, v24, v27
	s_wait_loadcnt 0x3
	v_dual_mul_f32 v44, v22, v13 :: v_dual_mul_f32 v43, v19, v35
	s_wait_loadcnt 0x2
	v_dual_mul_f32 v26, v24, v28 :: v_dual_mul_f32 v65, v23, v54
	v_dual_mul_f32 v22, v23, v53 :: v_dual_mul_f32 v23, v18, v51
	v_dual_mul_f32 v66, v19, v36 :: v_dual_mul_f32 v67, v20, v38
	v_mul_f32_e32 v18, v18, v52
	v_mul_f32_e32 v42, v20, v37
	s_wait_loadcnt_dscnt 0x0
	v_dual_mul_f32 v20, v17, v61 :: v_dual_fmac_f32 v21, v46, v28
	v_dual_mul_f32 v32, v15, v57 :: v_dual_fmac_f32 v23, v49, v52
	v_mul_f32_e32 v15, v15, v58
	v_fma_f32 v68, v8, v11, -v25
	v_fma_f32 v25, v46, v27, -v26
	v_fmac_f32_e32 v22, v45, v54
	v_fma_f32 v26, v45, v53, -v65
	v_fma_f32 v27, v49, v51, -v18
	;; [unrolled: 1-line block ×3, first 2 shown]
	v_dual_mul_f32 v34, v10, v55 :: v_dual_fmac_f32 v7, v31, v30
	v_dual_mul_f32 v17, v17, v62 :: v_dual_mul_f32 v24, v16, v59
	v_fmac_f32_e32 v43, v39, v36
	v_fmac_f32_e32 v50, v8, v12
	v_fma_f32 v19, v31, v29, -v6
	v_mul_f32_e32 v10, v10, v56
	v_fma_f32 v46, v39, v35, -v66
	v_add_f32_e32 v35, v45, v27
	v_fmac_f32_e32 v44, v9, v14
	v_fma_f32 v47, v9, v13, -v41
	v_fma_f32 v30, v48, v61, -v17
	v_add_f32_e32 v17, v50, v7
	v_add_f32_e32 v49, v68, v19
	v_fma_f32 v37, v33, v55, -v10
	v_dual_sub_f32 v11, v44, v21 :: v_dual_sub_f32 v18, v50, v7
	v_dual_sub_f32 v10, v43, v22 :: v_dual_add_f32 v53, v68, v4
	v_dual_fmac_f32 v42, v40, v38 :: v_dual_sub_f32 v39, v45, v27
	v_mul_f32_e32 v16, v16, v60
	v_dual_fmac_f32 v34, v33, v56 :: v_dual_sub_f32 v51, v68, v19
	v_dual_fmac_f32 v20, v48, v62 :: v_dual_mul_f32 v55, 0xbf52af12, v11
	v_fma_f32 v33, v63, v57, -v15
	v_dual_add_f32 v48, v47, v25 :: v_dual_sub_f32 v41, v46, v26
	v_dual_sub_f32 v52, v47, v25 :: v_dual_mul_f32 v67, 0xbe750f2a, v11
	v_add_f32_e32 v15, v43, v22
	v_dual_mul_f32 v54, 0xbeedf032, v18 :: v_dual_add_f32 v47, v53, v47
	v_dual_fmac_f32 v24, v64, v60 :: v_dual_add_f32 v29, v37, v30
	v_sub_f32_e32 v9, v42, v23
	v_fma_f32 v31, v64, v59, -v16
	v_add_f32_e32 v36, v46, v26
	v_dual_add_f32 v50, v5, v50 :: v_dual_mul_f32 v75, 0x3eedf032, v39
	v_mul_f32_e32 v78, 0xbf29c268, v18
	v_dual_mul_f32 v93, 0x3eedf032, v52 :: v_dual_add_f32 v46, v47, v46
	v_mul_f32_e32 v60, 0xbeedf032, v51
	v_dual_add_f32 v28, v33, v31 :: v_dual_mul_f32 v61, 0xbf52af12, v52
	v_dual_sub_f32 v40, v33, v31 :: v_dual_mul_f32 v81, 0x3f7e222b, v52
	v_add_f32_e32 v16, v44, v21
	v_mul_f32_e32 v57, 0xbf6f5d39, v9
	v_dual_mul_f32 v79, 0x3f7e222b, v11 :: v_dual_add_f32 v44, v50, v44
	v_dual_mul_f32 v94, 0xbf3f9e67, v36 :: v_dual_fmamk_f32 v47, v49, 0xbf3f9e67, v78
	v_add_f32_e32 v45, v46, v45
	v_fma_f32 v113, 0x3f62ad3f, v17, -v60
	v_mul_f32_e32 v66, 0xbf7e222b, v18
	v_dual_sub_f32 v38, v37, v30 :: v_dual_mul_f32 v73, 0xbe750f2a, v52
	v_dual_mul_f32 v62, 0xbf7e222b, v41 :: v_dual_add_f32 v43, v44, v43
	v_mul_f32_e32 v65, 0xbe750f2a, v40
	v_dual_mul_f32 v91, 0x3f62ad3f, v48 :: v_dual_fmamk_f32 v50, v49, 0x3f62ad3f, v54
	v_mul_f32_e32 v92, 0xbe750f2a, v51
	v_mul_f32_e32 v90, 0xbf788fa5, v49
	v_fma_f32 v115, 0x3f116cb1, v16, -v61
	v_dual_fmamk_f32 v44, v48, 0x3df6dbef, v79 :: v_dual_add_f32 v113, v5, v113
	v_dual_fmamk_f32 v114, v49, 0x3df6dbef, v66 :: v_dual_add_f32 v47, v4, v47
	v_mul_f32_e32 v74, 0x3f6f5d39, v41
	v_dual_mul_f32 v96, 0x3f116cb1, v35 :: v_dual_mul_f32 v111, 0x3f116cb1, v49
	v_dual_mul_f32 v97, 0x3f52af12, v39 :: v_dual_add_f32 v50, v4, v50
	s_delay_alu instid0(VALU_DEP_4)
	v_dual_mul_f32 v105, 0x3f29c268, v52 :: v_dual_add_f32 v114, v4, v114
	v_mul_f32_e32 v106, 0x3f62ad3f, v36
	v_fma_f32 v78, 0xbf3f9e67, v49, -v78
	v_fma_f32 v66, 0x3df6dbef, v49, -v66
	v_fma_f32 v46, 0xbf788fa5, v16, -v73
	v_fmamk_f32 v53, v48, 0x3f116cb1, v55
	v_add_f32_e32 v113, v113, v115
	v_dual_fmamk_f32 v115, v18, 0x3e750f2a, v90 :: v_dual_add_f32 v44, v47, v44
	v_fmamk_f32 v47, v16, 0x3f62ad3f, v93
	v_mul_f32_e32 v102, 0xbeb58ec6, v49
	v_fma_f32 v49, 0x3f62ad3f, v49, -v54
	v_fmamk_f32 v54, v48, 0xbf788fa5, v67
	v_dual_mul_f32 v98, 0xbeb58ec6, v29 :: v_dual_add_f32 v115, v4, v115
	v_dual_mul_f32 v103, 0xbf3f9e67, v48 :: v_dual_add_f32 v50, v50, v53
	v_mul_f32_e32 v80, 0xbf29c268, v51
	s_delay_alu instid0(VALU_DEP_4) | instskip(SKIP_3) | instid1(VALU_DEP_3)
	v_dual_mul_f32 v107, 0x3eedf032, v41 :: v_dual_add_f32 v54, v114, v54
	v_fmamk_f32 v114, v11, 0xbeedf032, v91
	v_dual_add_f32 v14, v42, v23 :: v_dual_mul_f32 v69, 0x3eedf032, v9
	v_dual_mul_f32 v101, 0x3f7e222b, v40 :: v_dual_add_f32 v42, v43, v42
	v_add_f32_e32 v114, v115, v114
	v_fmamk_f32 v115, v11, 0xbf29c268, v103
	v_fma_f32 v43, 0xbf3f9e67, v17, -v80
	v_mul_f32_e32 v82, 0xbf52af12, v10
	v_fma_f32 v53, 0x3df6dbef, v16, -v81
	v_dual_mul_f32 v99, 0xbf6f5d39, v38 :: v_dual_mul_f32 v104, 0xbf6f5d39, v51
	s_delay_alu instid0(VALU_DEP_4)
	v_add_f32_e32 v43, v5, v43
	v_mul_f32_e32 v72, 0xbf7e222b, v51
	v_mul_f32_e32 v112, 0xbeb58ec6, v48
	v_fma_f32 v79, 0x3df6dbef, v48, -v79
	v_fma_f32 v67, 0xbf788fa5, v48, -v67
	v_fma_f32 v48, 0x3f116cb1, v48, -v55
	v_add_f32_e32 v43, v43, v53
	v_fma_f32 v55, 0x3df6dbef, v17, -v72
	v_dual_mul_f32 v68, 0x3f6f5d39, v10 :: v_dual_fmamk_f32 v53, v18, 0x3f6f5d39, v102
	v_add_f32_e32 v78, v4, v78
	s_delay_alu instid0(VALU_DEP_3) | instskip(SKIP_1) | instid1(VALU_DEP_4)
	v_dual_fmac_f32 v80, 0xbf3f9e67, v17 :: v_dual_add_f32 v55, v5, v55
	v_dual_mul_f32 v108, 0x3df6dbef, v35 :: v_dual_fmac_f32 v81, 0x3df6dbef, v16
	v_add_f32_e32 v53, v4, v53
	v_add_f32_e32 v66, v4, v66
	s_delay_alu instid0(VALU_DEP_4) | instskip(SKIP_3) | instid1(VALU_DEP_4)
	v_dual_add_f32 v46, v55, v46 :: v_dual_fmamk_f32 v55, v17, 0xbf788fa5, v92
	v_mul_f32_e32 v100, 0x3df6dbef, v28
	v_dual_fmac_f32 v32, v63, v58 :: v_dual_add_f32 v13, v34, v20
	v_dual_mul_f32 v76, 0xbf52af12, v38 :: v_dual_mul_f32 v51, 0xbf52af12, v51
	v_add_f32_e32 v55, v5, v55
	v_add_f32_e32 v66, v66, v67
	v_fmac_f32_e32 v60, 0x3f62ad3f, v17
	v_dual_sub_f32 v6, v32, v24 :: v_dual_mul_f32 v63, 0xbf6f5d39, v39
	s_delay_alu instid0(VALU_DEP_4) | instskip(SKIP_4) | instid1(VALU_DEP_4)
	v_add_f32_e32 v47, v55, v47
	v_fmamk_f32 v55, v17, 0xbeb58ec6, v104
	v_mul_f32_e32 v52, 0xbf6f5d39, v52
	v_dual_add_f32 v78, v78, v79 :: v_dual_fmamk_f32 v79, v16, 0xbf3f9e67, v105
	v_dual_sub_f32 v8, v34, v20 :: v_dual_mul_f32 v59, 0xbe750f2a, v6
	v_add_f32_e32 v55, v5, v55
	s_delay_alu instid0(VALU_DEP_4) | instskip(SKIP_1) | instid1(VALU_DEP_2)
	v_dual_add_f32 v80, v5, v80 :: v_dual_fmamk_f32 v67, v16, 0xbeb58ec6, v52
	v_dual_mul_f32 v56, 0xbf7e222b, v10 :: v_dual_mul_f32 v109, 0xbf7e222b, v39
	v_dual_add_f32 v53, v53, v115 :: v_dual_add_f32 v80, v80, v81
	v_fmamk_f32 v81, v18, 0x3f52af12, v111
	v_fmamk_f32 v115, v11, 0x3f6f5d39, v112
	v_add_f32_e32 v55, v55, v79
	v_fmamk_f32 v79, v17, 0x3f116cb1, v51
	v_dual_add_f32 v49, v4, v49 :: v_dual_add_f32 v60, v5, v60
	v_add_f32_e32 v81, v4, v81
	v_fmac_f32_e32 v72, 0x3df6dbef, v17
	v_dual_fmac_f32 v61, 0x3f116cb1, v16 :: v_dual_add_f32 v34, v42, v34
	v_dual_mul_f32 v58, 0xbf29c268, v8 :: v_dual_mul_f32 v95, 0xbf29c268, v41
	v_dual_mul_f32 v70, 0xbf52af12, v8 :: v_dual_mul_f32 v83, 0xbf52af12, v41
	v_dual_mul_f32 v110, 0xbf788fa5, v29 :: v_dual_fmac_f32 v73, 0xbf788fa5, v16
	v_add_f32_e32 v79, v5, v79
	v_add_f32_e32 v81, v81, v115
	;; [unrolled: 1-line block ×3, first 2 shown]
	v_dual_add_f32 v37, v45, v37 :: v_dual_fmamk_f32 v42, v36, 0x3f116cb1, v82
	v_dual_fmamk_f32 v45, v36, 0x3df6dbef, v56 :: v_dual_add_f32 v48, v49, v48
	v_add_f32_e32 v60, v60, v61
	v_fmamk_f32 v61, v36, 0xbeb58ec6, v68
	v_fma_f32 v68, 0xbeb58ec6, v36, -v68
	v_dual_mul_f32 v117, 0xbe750f2a, v41 :: v_dual_add_f32 v42, v44, v42
	v_fma_f32 v41, 0xbeb58ec6, v15, -v74
	v_dual_mul_f32 v84, 0x3e750f2a, v9 :: v_dual_mul_f32 v85, 0x3e750f2a, v39
	v_dual_add_f32 v72, v72, v73 :: v_dual_add_f32 v67, v79, v67
	v_mul_f32_e32 v79, 0x3f52af12, v40
	v_fma_f32 v49, 0x3df6dbef, v15, -v62
	v_fma_f32 v82, 0x3f116cb1, v36, -v82
	;; [unrolled: 1-line block ×3, first 2 shown]
	v_mul_f32_e32 v116, 0xbf788fa5, v36
	v_add_f32_e32 v36, v50, v45
	v_add_f32_e32 v45, v113, v49
	v_dual_add_f32 v50, v54, v61 :: v_dual_fmamk_f32 v61, v15, 0xbf3f9e67, v95
	v_fma_f32 v54, 0x3f116cb1, v15, -v83
	v_dual_add_f32 v41, v46, v41 :: v_dual_fmamk_f32 v44, v35, 0x3f62ad3f, v69
	v_fmamk_f32 v46, v10, 0x3f29c268, v94
	v_add_f32_e32 v66, v66, v68
	v_fmamk_f32 v68, v15, 0xbf788fa5, v117
	v_fmamk_f32 v49, v35, 0xbeb58ec6, v57
	v_add_f32_e32 v43, v43, v54
	v_fmamk_f32 v54, v35, 0xbf788fa5, v84
	v_fma_f32 v84, 0xbf788fa5, v35, -v84
	v_fma_f32 v69, 0x3f62ad3f, v35, -v69
	;; [unrolled: 1-line block ×3, first 2 shown]
	v_mul_f32_e32 v113, 0xbf3f9e67, v35
	v_fmac_f32_e32 v83, 0x3f116cb1, v15
	v_dual_add_f32 v35, v47, v61 :: v_dual_add_f32 v46, v114, v46
	v_dual_fmac_f32 v74, 0xbeb58ec6, v15 :: v_dual_add_f32 v67, v67, v68
	v_fmamk_f32 v61, v10, 0xbeedf032, v106
	v_dual_mul_f32 v64, 0xbf29c268, v38 :: v_dual_mul_f32 v77, 0xbf29c268, v40
	v_dual_mul_f32 v86, 0x3eedf032, v8 :: v_dual_mul_f32 v87, 0x3eedf032, v38
	;; [unrolled: 1-line block ×3, first 2 shown]
	v_mul_f32_e32 v73, 0x3e750f2a, v38
	v_mul_f32_e32 v114, 0x3f29c268, v39
	;; [unrolled: 1-line block ×3, first 2 shown]
	v_dual_add_f32 v39, v78, v82 :: v_dual_mul_f32 v82, 0x3eedf032, v40
	v_dual_add_f32 v33, v37, v33 :: v_dual_add_f32 v72, v72, v74
	v_dual_add_f32 v40, v53, v61 :: v_dual_fmamk_f32 v61, v10, 0x3e750f2a, v116
	v_add_f32_e32 v48, v48, v56
	v_mul_f32_e32 v78, 0x3f7e222b, v38
	v_add_f32_e32 v38, v80, v83
	v_dual_fmamk_f32 v80, v15, 0x3f62ad3f, v107 :: v_dual_mul_f32 v53, 0x3f62ad3f, v28
	v_add_f32_e32 v44, v50, v44
	v_fma_f32 v50, 0xbf788fa5, v14, -v85
	v_fmac_f32_e32 v85, 0xbf788fa5, v14
	s_delay_alu instid0(VALU_DEP_4) | instskip(SKIP_3) | instid1(VALU_DEP_3)
	v_add_f32_e32 v55, v55, v80
	v_fma_f32 v80, 0xbeb58ec6, v14, -v63
	v_dual_add_f32 v12, v32, v24 :: v_dual_mul_f32 v71, 0xbf29c268, v6
	v_dual_add_f32 v61, v81, v61 :: v_dual_fmac_f32 v62, 0x3df6dbef, v15
	v_add_f32_e32 v45, v45, v80
	v_dual_add_f32 v81, v34, v32 :: v_dual_fmamk_f32 v32, v29, 0x3f116cb1, v70
	v_dual_add_f32 v43, v43, v50 :: v_dual_fmamk_f32 v80, v14, 0x3df6dbef, v109
	v_add_f32_e32 v31, v33, v31
	v_fma_f32 v83, 0x3f62ad3f, v13, -v87
	v_dual_add_f32 v60, v60, v62 :: v_dual_add_f32 v39, v39, v84
	v_fma_f32 v62, 0x3f62ad3f, v14, -v75
	v_dual_add_f32 v42, v42, v54 :: v_dual_add_f32 v55, v55, v80
	s_delay_alu instid0(VALU_DEP_4)
	v_dual_fmamk_f32 v80, v9, 0xbf29c268, v113 :: v_dual_add_f32 v43, v43, v83
	v_fmamk_f32 v54, v14, 0x3f116cb1, v97
	v_fmamk_f32 v74, v29, 0xbf3f9e67, v58
	v_dual_add_f32 v34, v36, v49 :: v_dual_add_f32 v41, v41, v62
	v_fmamk_f32 v49, v28, 0xbf3f9e67, v71
	v_add_f32_e32 v61, v61, v80
	v_dual_fmamk_f32 v62, v9, 0xbf52af12, v96 :: v_dual_add_f32 v35, v35, v54
	s_delay_alu instid0(VALU_DEP_4) | instskip(SKIP_2) | instid1(VALU_DEP_3)
	v_dual_fmamk_f32 v54, v9, 0x3f7e222b, v108 :: v_dual_add_f32 v33, v34, v74
	v_fma_f32 v68, 0xbf3f9e67, v13, -v64
	v_dual_fmamk_f32 v37, v28, 0xbf788fa5, v59 :: v_dual_add_f32 v66, v66, v69
	v_dual_add_f32 v40, v40, v54 :: v_dual_fmamk_f32 v69, v14, 0xbf3f9e67, v114
	v_mul_f32_e32 v115, 0x3f116cb1, v28
	v_fma_f32 v36, 0x3f116cb1, v13, -v76
	v_add_f32_e32 v46, v46, v62
	v_add_f32_e32 v38, v38, v85
	v_add_f32_e32 v67, v67, v69
	v_fmamk_f32 v69, v13, 0xbeb58ec6, v99
	v_fmamk_f32 v80, v8, 0x3f6f5d39, v98
	v_fma_f32 v34, 0x3f62ad3f, v29, -v86
	v_dual_fmamk_f32 v62, v29, 0x3f62ad3f, v86 :: v_dual_fmac_f32 v75, 0x3f62ad3f, v14
	v_dual_fmamk_f32 v84, v6, 0xbf7e222b, v100 :: v_dual_fmamk_f32 v83, v8, 0xbf7e222b, v47
	s_delay_alu instid0(VALU_DEP_3)
	v_dual_fmamk_f32 v74, v12, 0x3df6dbef, v101 :: v_dual_add_f32 v39, v39, v34
	v_fma_f32 v85, 0xbeb58ec6, v28, -v88
	v_add_f32_e32 v45, v45, v68
	v_add_f32_e32 v32, v44, v32
	v_dual_add_f32 v36, v41, v36 :: v_dual_fmac_f32 v63, 0xbeb58ec6, v14
	v_fmamk_f32 v41, v6, 0xbf52af12, v115
	v_fma_f32 v70, 0x3f116cb1, v29, -v70
	v_dual_fmamk_f32 v68, v8, 0xbe750f2a, v110 :: v_dual_add_f32 v69, v35, v69
	v_add_f32_e32 v46, v46, v80
	v_fmamk_f32 v80, v13, 0x3df6dbef, v78
	v_fmamk_f32 v44, v13, 0xbf788fa5, v73
	v_fma_f32 v50, 0xbf3f9e67, v12, -v77
	v_dual_add_f32 v42, v42, v62 :: v_dual_fmac_f32 v77, 0xbf3f9e67, v12
	v_dual_fmamk_f32 v62, v12, 0x3f116cb1, v79 :: v_dual_add_f32 v61, v61, v83
	v_fma_f32 v71, 0xbf3f9e67, v28, -v71
	v_dual_fmamk_f32 v86, v6, 0xbeedf032, v53 :: v_dual_add_f32 v39, v39, v85
	v_add_f32_e32 v67, v67, v80
	v_dual_add_f32 v44, v55, v44 :: v_dual_add_f32 v55, v66, v70
	v_add_f32_e32 v40, v40, v68
	v_dual_fmac_f32 v96, 0x3f52af12, v9 :: v_dual_fmac_f32 v115, 0x3f52af12, v6
	v_fmac_f32_e32 v64, 0xbf3f9e67, v13
	v_add_f32_e32 v68, v30, v31
	v_dual_add_f32 v72, v72, v75 :: v_dual_fmac_f32 v87, 0x3f62ad3f, v13
	v_fma_f32 v75, 0xbeb58ec6, v12, -v89
	v_add_f32_e32 v31, v33, v37
	v_add_f32_e32 v33, v32, v49
	v_dual_add_f32 v32, v36, v50 :: v_dual_add_f32 v27, v27, v68
	v_dual_add_f32 v24, v81, v24 :: v_dual_fmac_f32 v103, 0x3f29c268, v11
	v_dual_fmamk_f32 v54, v28, 0xbeb58ec6, v88 :: v_dual_fmac_f32 v89, 0xbeb58ec6, v12
	v_dual_fmamk_f32 v88, v12, 0x3f62ad3f, v82 :: v_dual_add_f32 v37, v46, v84
	v_add_f32_e32 v34, v43, v75
	v_dual_add_f32 v36, v69, v74 :: v_dual_fmac_f32 v91, 0x3eedf032, v11
	v_add_f32_e32 v43, v55, v71
	v_dual_add_f32 v38, v38, v87 :: v_dual_add_f32 v41, v40, v41
	v_add_f32_e32 v46, v48, v57
	v_add_f32_e32 v20, v20, v24
	v_fmac_f32_e32 v94, 0xbf29c268, v10
	v_add_f32_e32 v48, v60, v63
	v_fmac_f32_e32 v98, 0xbf6f5d39, v8
	v_add_f32_e32 v26, v26, v27
	v_fma_f32 v56, 0xbf788fa5, v12, -v65
	v_dual_fmac_f32 v76, 0x3f116cb1, v13 :: v_dual_add_f32 v35, v42, v54
	s_delay_alu instid0(VALU_DEP_3)
	v_dual_add_f32 v38, v38, v89 :: v_dual_add_f32 v25, v25, v26
	v_add_f32_e32 v27, v48, v64
	v_fmac_f32_e32 v65, 0xbf788fa5, v12
	v_add_f32_e32 v26, v23, v20
	v_add_f32_e32 v30, v45, v56
	;; [unrolled: 1-line block ×3, first 2 shown]
	v_fma_f32 v29, 0xbf3f9e67, v29, -v58
	v_dual_add_f32 v23, v27, v65 :: v_dual_add_f32 v66, v72, v76
	v_fma_f32 v27, 0xbf788fa5, v17, -v92
	v_add_f32_e32 v40, v44, v62
	v_add_f32_e32 v44, v67, v88
	v_fmac_f32_e32 v110, 0x3e750f2a, v8
	v_dual_add_f32 v20, v19, v25 :: v_dual_add_f32 v19, v22, v26
	v_add_f32_e32 v29, v46, v29
	v_add_f32_e32 v42, v66, v77
	v_fma_f32 v28, 0xbf788fa5, v28, -v59
	v_add_f32_e32 v25, v5, v27
	v_add_f32_e32 v19, v21, v19
	v_fma_f32 v26, 0x3f62ad3f, v16, -v93
	s_delay_alu instid0(VALU_DEP_4) | instskip(SKIP_1) | instid1(VALU_DEP_4)
	v_dual_fmac_f32 v111, 0xbf52af12, v18 :: v_dual_add_f32 v24, v29, v28
	v_fmac_f32_e32 v112, 0xbf6f5d39, v11
	v_add_f32_e32 v19, v7, v19
	v_fma_f32 v7, 0xbeb58ec6, v17, -v104
	v_fmac_f32_e32 v90, 0xbe750f2a, v18
	v_fma_f32 v17, 0x3f116cb1, v17, -v51
	v_fma_f32 v11, 0xbeb58ec6, v16, -v52
	v_fmac_f32_e32 v113, 0x3f29c268, v9
	s_delay_alu instid0(VALU_DEP_4) | instskip(NEXT) | instid1(VALU_DEP_4)
	v_dual_add_f32 v7, v5, v7 :: v_dual_add_f32 v22, v4, v90
	v_dual_add_f32 v5, v5, v17 :: v_dual_fmac_f32 v102, 0xbf6f5d39, v18
	v_fma_f32 v18, 0xbf3f9e67, v16, -v105
	v_fma_f32 v16, 0x3f62ad3f, v15, -v107
	s_delay_alu instid0(VALU_DEP_4) | instskip(NEXT) | instid1(VALU_DEP_4)
	v_add_f32_e32 v21, v22, v91
	v_add_f32_e32 v5, v5, v11
	;; [unrolled: 1-line block ×3, first 2 shown]
	v_fma_f32 v25, 0xbf3f9e67, v15, -v95
	v_add_f32_e32 v7, v7, v18
	v_fma_f32 v11, 0x3df6dbef, v14, -v109
	v_fmac_f32_e32 v116, 0xbe750f2a, v10
	s_delay_alu instid0(VALU_DEP_4) | instskip(NEXT) | instid1(VALU_DEP_4)
	v_dual_fmac_f32 v47, 0x3f7e222b, v8 :: v_dual_add_f32 v22, v22, v25
	v_dual_add_f32 v7, v7, v16 :: v_dual_add_f32 v26, v4, v102
	v_dual_add_f32 v4, v4, v111 :: v_dual_add_f32 v21, v21, v94
	v_fma_f32 v25, 0x3f116cb1, v14, -v97
	s_delay_alu instid0(VALU_DEP_3) | instskip(NEXT) | instid1(VALU_DEP_3)
	v_dual_add_f32 v7, v7, v11 :: v_dual_fmac_f32 v108, 0xbf7e222b, v9
	v_add_f32_e32 v4, v4, v112
	v_fma_f32 v9, 0xbf3f9e67, v14, -v114
	v_fmac_f32_e32 v106, 0x3eedf032, v10
	v_fma_f32 v10, 0xbf788fa5, v15, -v117
	v_add_f32_e32 v26, v26, v103
	v_add_f32_e32 v4, v4, v116
	v_dual_add_f32 v21, v21, v96 :: v_dual_add_f32 v22, v22, v25
	s_delay_alu instid0(VALU_DEP_4) | instskip(SKIP_2) | instid1(VALU_DEP_4)
	v_add_f32_e32 v5, v5, v10
	v_fma_f32 v25, 0xbeb58ec6, v13, -v99
	v_fma_f32 v10, 0xbf788fa5, v13, -v73
	v_dual_add_f32 v4, v4, v113 :: v_dual_add_f32 v21, v21, v98
	s_delay_alu instid0(VALU_DEP_4) | instskip(NEXT) | instid1(VALU_DEP_4)
	v_dual_add_f32 v5, v5, v9 :: v_dual_add_f32 v26, v26, v106
	v_add_f32_e32 v25, v22, v25
	v_fma_f32 v27, 0x3df6dbef, v12, -v101
	v_fma_f32 v8, 0x3df6dbef, v13, -v78
	s_delay_alu instid0(VALU_DEP_4)
	v_dual_add_f32 v7, v7, v10 :: v_dual_add_f32 v26, v26, v108
	v_dual_fmac_f32 v53, 0x3eedf032, v6 :: v_dual_add_f32 v4, v4, v47
	v_fmac_f32_e32 v100, 0x3f7e222b, v6
	v_fma_f32 v9, 0x3f116cb1, v12, -v79
	v_add_f32_e32 v6, v5, v8
	v_fma_f32 v8, 0x3f62ad3f, v12, -v82
	s_delay_alu instid0(VALU_DEP_4) | instskip(SKIP_2) | instid1(VALU_DEP_1)
	v_dual_add_f32 v5, v4, v53 :: v_dual_add_f32 v22, v21, v100
	v_add_f32_e32 v21, v25, v27
	v_dual_add_f32 v25, v26, v110 :: v_dual_add_f32 v2, v7, v9
	v_dual_add_f32 v4, v6, v8 :: v_dual_add_f32 v3, v25, v115
	s_clause 0xc
	global_store_b64 v[0:1], v[19:20], off
	global_store_b64 v[0:1], v[23:24], off offset:208
	global_store_b64 v[0:1], v[44:45], off offset:416
	;; [unrolled: 1-line block ×12, first 2 shown]
.LBB0_21:
	s_nop 0
	s_sendmsg sendmsg(MSG_DEALLOC_VGPRS)
	s_endpgm
	.section	.rodata,"a",@progbits
	.p2align	6, 0x0
	.amdhsa_kernel fft_rtc_back_len338_factors_13_2_13_wgs_52_tpt_26_halfLds_sp_ip_CI_unitstride_sbrr_dirReg
		.amdhsa_group_segment_fixed_size 0
		.amdhsa_private_segment_fixed_size 0
		.amdhsa_kernarg_size 88
		.amdhsa_user_sgpr_count 2
		.amdhsa_user_sgpr_dispatch_ptr 0
		.amdhsa_user_sgpr_queue_ptr 0
		.amdhsa_user_sgpr_kernarg_segment_ptr 1
		.amdhsa_user_sgpr_dispatch_id 0
		.amdhsa_user_sgpr_private_segment_size 0
		.amdhsa_wavefront_size32 1
		.amdhsa_uses_dynamic_stack 0
		.amdhsa_enable_private_segment 0
		.amdhsa_system_sgpr_workgroup_id_x 1
		.amdhsa_system_sgpr_workgroup_id_y 0
		.amdhsa_system_sgpr_workgroup_id_z 0
		.amdhsa_system_sgpr_workgroup_info 0
		.amdhsa_system_vgpr_workitem_id 0
		.amdhsa_next_free_vgpr 118
		.amdhsa_next_free_sgpr 32
		.amdhsa_reserve_vcc 1
		.amdhsa_float_round_mode_32 0
		.amdhsa_float_round_mode_16_64 0
		.amdhsa_float_denorm_mode_32 3
		.amdhsa_float_denorm_mode_16_64 3
		.amdhsa_fp16_overflow 0
		.amdhsa_workgroup_processor_mode 1
		.amdhsa_memory_ordered 1
		.amdhsa_forward_progress 0
		.amdhsa_round_robin_scheduling 0
		.amdhsa_exception_fp_ieee_invalid_op 0
		.amdhsa_exception_fp_denorm_src 0
		.amdhsa_exception_fp_ieee_div_zero 0
		.amdhsa_exception_fp_ieee_overflow 0
		.amdhsa_exception_fp_ieee_underflow 0
		.amdhsa_exception_fp_ieee_inexact 0
		.amdhsa_exception_int_div_zero 0
	.end_amdhsa_kernel
	.text
.Lfunc_end0:
	.size	fft_rtc_back_len338_factors_13_2_13_wgs_52_tpt_26_halfLds_sp_ip_CI_unitstride_sbrr_dirReg, .Lfunc_end0-fft_rtc_back_len338_factors_13_2_13_wgs_52_tpt_26_halfLds_sp_ip_CI_unitstride_sbrr_dirReg
                                        ; -- End function
	.section	.AMDGPU.csdata,"",@progbits
; Kernel info:
; codeLenInByte = 9952
; NumSgprs: 34
; NumVgprs: 118
; ScratchSize: 0
; MemoryBound: 0
; FloatMode: 240
; IeeeMode: 1
; LDSByteSize: 0 bytes/workgroup (compile time only)
; SGPRBlocks: 4
; VGPRBlocks: 14
; NumSGPRsForWavesPerEU: 34
; NumVGPRsForWavesPerEU: 118
; Occupancy: 12
; WaveLimiterHint : 1
; COMPUTE_PGM_RSRC2:SCRATCH_EN: 0
; COMPUTE_PGM_RSRC2:USER_SGPR: 2
; COMPUTE_PGM_RSRC2:TRAP_HANDLER: 0
; COMPUTE_PGM_RSRC2:TGID_X_EN: 1
; COMPUTE_PGM_RSRC2:TGID_Y_EN: 0
; COMPUTE_PGM_RSRC2:TGID_Z_EN: 0
; COMPUTE_PGM_RSRC2:TIDIG_COMP_CNT: 0
	.text
	.p2alignl 7, 3214868480
	.fill 96, 4, 3214868480
	.type	__hip_cuid_baaccaf2f1cdfb3,@object ; @__hip_cuid_baaccaf2f1cdfb3
	.section	.bss,"aw",@nobits
	.globl	__hip_cuid_baaccaf2f1cdfb3
__hip_cuid_baaccaf2f1cdfb3:
	.byte	0                               ; 0x0
	.size	__hip_cuid_baaccaf2f1cdfb3, 1

	.ident	"AMD clang version 19.0.0git (https://github.com/RadeonOpenCompute/llvm-project roc-6.4.0 25133 c7fe45cf4b819c5991fe208aaa96edf142730f1d)"
	.section	".note.GNU-stack","",@progbits
	.addrsig
	.addrsig_sym __hip_cuid_baaccaf2f1cdfb3
	.amdgpu_metadata
---
amdhsa.kernels:
  - .args:
      - .actual_access:  read_only
        .address_space:  global
        .offset:         0
        .size:           8
        .value_kind:     global_buffer
      - .offset:         8
        .size:           8
        .value_kind:     by_value
      - .actual_access:  read_only
        .address_space:  global
        .offset:         16
        .size:           8
        .value_kind:     global_buffer
      - .actual_access:  read_only
        .address_space:  global
        .offset:         24
        .size:           8
        .value_kind:     global_buffer
      - .offset:         32
        .size:           8
        .value_kind:     by_value
      - .actual_access:  read_only
        .address_space:  global
        .offset:         40
        .size:           8
        .value_kind:     global_buffer
      - .actual_access:  read_only
        .address_space:  global
        .offset:         48
        .size:           8
        .value_kind:     global_buffer
      - .offset:         56
        .size:           4
        .value_kind:     by_value
      - .actual_access:  read_only
        .address_space:  global
        .offset:         64
        .size:           8
        .value_kind:     global_buffer
      - .actual_access:  read_only
        .address_space:  global
        .offset:         72
        .size:           8
        .value_kind:     global_buffer
      - .address_space:  global
        .offset:         80
        .size:           8
        .value_kind:     global_buffer
    .group_segment_fixed_size: 0
    .kernarg_segment_align: 8
    .kernarg_segment_size: 88
    .language:       OpenCL C
    .language_version:
      - 2
      - 0
    .max_flat_workgroup_size: 52
    .name:           fft_rtc_back_len338_factors_13_2_13_wgs_52_tpt_26_halfLds_sp_ip_CI_unitstride_sbrr_dirReg
    .private_segment_fixed_size: 0
    .sgpr_count:     34
    .sgpr_spill_count: 0
    .symbol:         fft_rtc_back_len338_factors_13_2_13_wgs_52_tpt_26_halfLds_sp_ip_CI_unitstride_sbrr_dirReg.kd
    .uniform_work_group_size: 1
    .uses_dynamic_stack: false
    .vgpr_count:     118
    .vgpr_spill_count: 0
    .wavefront_size: 32
    .workgroup_processor_mode: 1
amdhsa.target:   amdgcn-amd-amdhsa--gfx1201
amdhsa.version:
  - 1
  - 2
...

	.end_amdgpu_metadata
